;; amdgpu-corpus repo=ROCm/rocFFT kind=compiled arch=gfx906 opt=O3
	.text
	.amdgcn_target "amdgcn-amd-amdhsa--gfx906"
	.amdhsa_code_object_version 6
	.protected	bluestein_single_fwd_len10240_dim1_half_op_CI_CI ; -- Begin function bluestein_single_fwd_len10240_dim1_half_op_CI_CI
	.globl	bluestein_single_fwd_len10240_dim1_half_op_CI_CI
	.p2align	8
	.type	bluestein_single_fwd_len10240_dim1_half_op_CI_CI,@function
bluestein_single_fwd_len10240_dim1_half_op_CI_CI: ; @bluestein_single_fwd_len10240_dim1_half_op_CI_CI
; %bb.0:
	s_load_dwordx4 s[12:15], s[4:5], 0x28
	s_mov_b32 s7, 0
	s_waitcnt lgkmcnt(0)
	v_mov_b32_e32 v1, s12
	v_mov_b32_e32 v2, s13
	v_cmp_lt_u64_e32 vcc, s[6:7], v[1:2]
	s_and_saveexec_b64 s[0:1], vcc
	s_cbranch_execz .LBB0_15
; %bb.1:
	s_load_dwordx4 s[8:11], s[4:5], 0x18
	v_mov_b32_e32 v31, s7
	v_mov_b32_e32 v30, s6
	v_lshlrev_b32_e32 v57, 2, v0
	v_or_b32_e32 v8, 0xa00, v0
	s_waitcnt lgkmcnt(0)
	s_load_dwordx4 s[0:3], s[8:9], 0x0
	s_movk_i32 s8, 0x1000
	v_lshlrev_b32_e32 v31, 2, v8
	v_or_b32_e32 v23, 0x1600, v0
	v_lshlrev_b32_e32 v42, 2, v23
	s_waitcnt lgkmcnt(0)
	v_mad_u64_u32 v[1:2], s[6:7], s2, v30, 0
	v_mad_u64_u32 v[3:4], s[6:7], s0, v0, 0
	s_load_dwordx2 s[6:7], s[4:5], 0x0
	s_load_dwordx2 s[12:13], s[4:5], 0x38
	v_mad_u64_u32 v[5:6], s[2:3], s3, v30, v[2:3]
	v_or_b32_e32 v25, 0x2000, v0
	s_waitcnt lgkmcnt(0)
	global_load_dword v75, v57, s[6:7]
	v_mad_u64_u32 v[6:7], s[2:3], s1, v0, v[4:5]
	v_mov_b32_e32 v2, v5
	v_lshlrev_b64 v[1:2], 2, v[1:2]
	v_mov_b32_e32 v4, v6
	v_mov_b32_e32 v7, s15
	v_lshlrev_b64 v[3:4], 2, v[3:4]
	v_add_co_u32_e32 v1, vcc, s14, v1
	v_addc_co_u32_e32 v5, vcc, v7, v2, vcc
	v_add_co_u32_e32 v2, vcc, v1, v3
	v_addc_co_u32_e32 v3, vcc, v5, v4, vcc
	s_mul_i32 s2, s1, 0x500
	s_mul_hi_u32 s3, s0, 0x500
	v_mov_b32_e32 v1, s7
	v_add_co_u32_e32 v55, vcc, s6, v57
	s_add_i32 s3, s3, s2
	s_mul_i32 s2, s0, 0x500
	v_addc_co_u32_e32 v56, vcc, 0, v1, vcc
	s_lshl_b64 s[2:3], s[2:3], 2
	v_mov_b32_e32 v1, s3
	v_add_co_u32_e32 v4, vcc, s2, v2
	v_addc_co_u32_e32 v5, vcc, v3, v1, vcc
	v_add_co_u32_e32 v6, vcc, s8, v55
	v_addc_co_u32_e32 v7, vcc, 0, v56, vcc
	global_load_dword v10, v[2:3], off
	global_load_dword v11, v[4:5], off
	v_add_co_u32_e32 v2, vcc, s2, v4
	global_load_dword v73, v[6:7], off offset:1024
	v_addc_co_u32_e32 v3, vcc, v5, v1, vcc
	global_load_dword v12, v[2:3], off
	global_load_dword v72, v31, s[6:7]
	v_add_co_u32_e32 v4, vcc, s2, v2
	v_addc_co_u32_e32 v5, vcc, v3, v1, vcc
	s_movk_i32 s8, 0x3000
	v_add_co_u32_e32 v8, vcc, s8, v55
	v_addc_co_u32_e32 v9, vcc, 0, v56, vcc
	global_load_dword v71, v[8:9], off offset:3072
	v_or_b32_e32 v8, 0x1400, v0
	v_lshlrev_b32_e32 v39, 2, v8
	global_load_dword v2, v[4:5], off
	s_load_dwordx4 s[8:11], s[10:11], 0x0
	global_load_dword v70, v39, s[6:7]
	global_load_dword v66, v57, s[6:7] offset:2048
	global_load_dword v65, v[6:7], off offset:3072
	v_add_co_u32_e32 v4, vcc, s2, v4
	v_addc_co_u32_e32 v5, vcc, v5, v1, vcc
	global_load_dword v13, v[4:5], off
	v_add_co_u32_e32 v4, vcc, s2, v4
	s_movk_i32 s14, 0x6000
	v_addc_co_u32_e32 v5, vcc, v5, v1, vcc
	global_load_dword v14, v[4:5], off
	s_mulk_i32 s1, 0xdf00
	v_lshlrev_b32_e32 v43, 2, v25
	v_mov_b32_e32 v3, 0
	s_movk_i32 s18, 0x2000
	global_load_dword v62, v42, s[6:7]
	s_waitcnt vmcnt(12)
	v_lshrrev_b32_e32 v6, 16, v10
	v_mul_f16_sdwa v7, v75, v10 dst_sel:DWORD dst_unused:UNUSED_PAD src0_sel:WORD_1 src1_sel:DWORD
	v_mul_f16_sdwa v8, v75, v6 dst_sel:DWORD dst_unused:UNUSED_PAD src0_sel:WORD_1 src1_sel:DWORD
	v_fma_f16 v6, v75, v6, -v7
	s_waitcnt vmcnt(11)
	v_lshrrev_b32_e32 v7, 16, v11
	s_waitcnt vmcnt(10)
	v_mul_f16_sdwa v9, v73, v11 dst_sel:DWORD dst_unused:UNUSED_PAD src0_sel:WORD_1 src1_sel:DWORD
	v_fma_f16 v8, v75, v10, v8
	v_mul_f16_sdwa v10, v73, v7 dst_sel:DWORD dst_unused:UNUSED_PAD src0_sel:WORD_1 src1_sel:DWORD
	v_fma_f16 v7, v73, v7, -v9
	s_waitcnt vmcnt(9)
	v_lshrrev_b32_e32 v9, 16, v12
	s_waitcnt vmcnt(8)
	v_mul_f16_sdwa v15, v72, v12 dst_sel:DWORD dst_unused:UNUSED_PAD src0_sel:WORD_1 src1_sel:DWORD
	v_pack_b32_f16 v16, v8, v6
	v_fma_f16 v6, v73, v11, v10
	v_mul_f16_sdwa v8, v72, v9 dst_sel:DWORD dst_unused:UNUSED_PAD src0_sel:WORD_1 src1_sel:DWORD
	v_fma_f16 v9, v72, v9, -v15
	v_pack_b32_f16 v11, v6, v7
	v_fma_f16 v6, v72, v12, v8
	v_pack_b32_f16 v15, v6, v9
	v_add_co_u32_e32 v6, vcc, s14, v55
	v_addc_co_u32_e32 v7, vcc, 0, v56, vcc
	v_add_co_u32_e32 v4, vcc, s2, v4
	v_addc_co_u32_e32 v5, vcc, v5, v1, vcc
	global_load_dword v69, v[6:7], off offset:1024
	global_load_dword v17, v[4:5], off
	v_add_co_u32_e32 v4, vcc, s2, v4
	v_or_b32_e32 v8, 0x1e00, v0
	v_addc_co_u32_e32 v5, vcc, v5, v1, vcc
	s_mov_b32 s14, 0x8000
	v_lshlrev_b32_e32 v41, 2, v8
	v_add_co_u32_e32 v8, vcc, s14, v55
	s_mul_hi_u32 s14, s0, 0xffffdf00
	global_load_dword v68, v41, s[6:7]
	s_sub_i32 s14, s14, s0
	s_add_i32 s1, s14, s1
	s_mulk_i32 s0, 0xdf00
	global_load_dword v18, v[4:5], off
	v_addc_co_u32_e32 v9, vcc, 0, v56, vcc
	s_lshl_b64 s[14:15], s[0:1], 2
	global_load_dword v67, v[8:9], off offset:3072
	v_mov_b32_e32 v8, s15
	v_add_co_u32_e32 v4, vcc, s14, v4
	v_addc_co_u32_e32 v5, vcc, v5, v8, vcc
	global_load_dword v19, v[4:5], off
	v_add_co_u32_e32 v4, vcc, s2, v4
	v_addc_co_u32_e32 v5, vcc, v5, v1, vcc
	global_load_dword v20, v[4:5], off
	v_add_co_u32_e32 v4, vcc, s2, v4
	v_or_b32_e32 v8, 0xc00, v0
	v_addc_co_u32_e32 v5, vcc, v5, v1, vcc
	global_load_dword v21, v[4:5], off
	v_lshlrev_b32_e32 v40, 2, v8
	global_load_dword v64, v40, s[6:7]
	v_add_co_u32_e32 v8, vcc, s2, v4
	v_addc_co_u32_e32 v9, vcc, v5, v1, vcc
	s_movk_i32 s0, 0x4000
	v_add_co_u32_e32 v4, vcc, s0, v55
	global_load_dword v22, v[8:9], off
	v_addc_co_u32_e32 v5, vcc, 0, v56, vcc
	global_load_dword v63, v[4:5], off offset:1024
	v_add_co_u32_e32 v8, vcc, s2, v8
	v_addc_co_u32_e32 v9, vcc, v9, v1, vcc
	global_load_dword v24, v[8:9], off
	v_add_co_u32_e32 v8, vcc, s2, v8
	v_addc_co_u32_e32 v9, vcc, v9, v1, vcc
	global_load_dword v23, v[8:9], off
	global_load_dword v61, v[6:7], off offset:3072
	v_add_co_u32_e32 v6, vcc, s2, v8
	v_addc_co_u32_e32 v7, vcc, v9, v1, vcc
	global_load_dword v26, v[6:7], off
	global_load_dword v60, v43, s[6:7]
	v_add_co_u32_e32 v6, vcc, s2, v6
	v_addc_co_u32_e32 v7, vcc, v7, v1, vcc
	s_mov_b32 s0, 0x9000
	v_add_co_u32_e32 v8, vcc, s0, v55
	global_load_dword v1, v[6:7], off
	v_addc_co_u32_e32 v9, vcc, 0, v56, vcc
	global_load_dword v58, v[8:9], off offset:1024
	s_waitcnt vmcnt(24)
	v_lshrrev_b32_e32 v10, 16, v2
	v_mul_f16_sdwa v12, v71, v10 dst_sel:DWORD dst_unused:UNUSED_PAD src0_sel:WORD_1 src1_sel:DWORD
	v_fma_f16 v8, v71, v2, v12
	v_mul_f16_sdwa v2, v71, v2 dst_sel:DWORD dst_unused:UNUSED_PAD src0_sel:WORD_1 src1_sel:DWORD
	v_fma_f16 v2, v71, v10, -v2
	v_pack_b32_f16 v2, v8, v2
	s_waitcnt vmcnt(20)
	v_lshrrev_b32_e32 v8, 16, v13
	v_mul_f16_sdwa v9, v70, v8 dst_sel:DWORD dst_unused:UNUSED_PAD src0_sel:WORD_1 src1_sel:DWORD
	v_mul_f16_sdwa v10, v70, v13 dst_sel:DWORD dst_unused:UNUSED_PAD src0_sel:WORD_1 src1_sel:DWORD
	v_fma_f16 v9, v70, v13, v9
	v_fma_f16 v8, v70, v8, -v10
	v_pack_b32_f16 v8, v9, v8
	s_waitcnt vmcnt(19)
	v_lshrrev_b32_e32 v9, 16, v14
	s_waitcnt vmcnt(17)
	v_mul_f16_sdwa v10, v69, v9 dst_sel:DWORD dst_unused:UNUSED_PAD src0_sel:WORD_1 src1_sel:DWORD
	v_mul_f16_sdwa v12, v69, v14 dst_sel:DWORD dst_unused:UNUSED_PAD src0_sel:WORD_1 src1_sel:DWORD
	v_fma_f16 v10, v69, v14, v10
	v_fma_f16 v9, v69, v9, -v12
	v_pack_b32_f16 v9, v10, v9
	s_waitcnt vmcnt(16)
	v_lshrrev_b32_e32 v10, 16, v17
	s_waitcnt vmcnt(15)
	;; [unrolled: 8-line block ×3, first 2 shown]
	v_mul_f16_sdwa v13, v67, v12 dst_sel:DWORD dst_unused:UNUSED_PAD src0_sel:WORD_1 src1_sel:DWORD
	v_mul_f16_sdwa v14, v67, v18 dst_sel:DWORD dst_unused:UNUSED_PAD src0_sel:WORD_1 src1_sel:DWORD
	v_fma_f16 v13, v67, v18, v13
	v_fma_f16 v12, v67, v12, -v14
	v_pack_b32_f16 v12, v13, v12
	s_waitcnt vmcnt(12)
	v_lshrrev_b32_e32 v13, 16, v19
	v_mul_f16_sdwa v14, v66, v13 dst_sel:DWORD dst_unused:UNUSED_PAD src0_sel:WORD_1 src1_sel:DWORD
	v_mul_f16_sdwa v17, v66, v19 dst_sel:DWORD dst_unused:UNUSED_PAD src0_sel:WORD_1 src1_sel:DWORD
	v_fma_f16 v14, v66, v19, v14
	v_fma_f16 v13, v66, v13, -v17
	v_pack_b32_f16 v13, v14, v13
	ds_write2st64_b32 v57, v16, v13 offset1:8
	s_waitcnt vmcnt(11)
	v_lshrrev_b32_e32 v13, 16, v20
	v_mul_f16_sdwa v14, v65, v13 dst_sel:DWORD dst_unused:UNUSED_PAD src0_sel:WORD_1 src1_sel:DWORD
	v_mul_f16_sdwa v16, v65, v20 dst_sel:DWORD dst_unused:UNUSED_PAD src0_sel:WORD_1 src1_sel:DWORD
	v_fma_f16 v14, v65, v20, v14
	v_fma_f16 v13, v65, v13, -v16
	v_pack_b32_f16 v13, v14, v13
	ds_write2st64_b32 v57, v11, v13 offset0:20 offset1:28
	s_waitcnt vmcnt(10)
	v_lshrrev_b32_e32 v11, 16, v21
	s_waitcnt vmcnt(9)
	v_mul_f16_sdwa v13, v64, v11 dst_sel:DWORD dst_unused:UNUSED_PAD src0_sel:WORD_1 src1_sel:DWORD
	v_mul_f16_sdwa v14, v64, v21 dst_sel:DWORD dst_unused:UNUSED_PAD src0_sel:WORD_1 src1_sel:DWORD
	v_fma_f16 v13, v64, v21, v13
	v_fma_f16 v11, v64, v11, -v14
	v_pack_b32_f16 v11, v13, v11
	ds_write2st64_b32 v57, v15, v11 offset0:40 offset1:48
	s_waitcnt vmcnt(8)
	v_lshrrev_b32_e32 v11, 16, v22
	s_waitcnt vmcnt(7)
	v_mul_f16_sdwa v13, v63, v11 dst_sel:DWORD dst_unused:UNUSED_PAD src0_sel:WORD_1 src1_sel:DWORD
	v_mul_f16_sdwa v14, v63, v22 dst_sel:DWORD dst_unused:UNUSED_PAD src0_sel:WORD_1 src1_sel:DWORD
	v_fma_f16 v13, v63, v22, v13
	v_fma_f16 v11, v63, v11, -v14
	v_pack_b32_f16 v11, v13, v11
	ds_write2st64_b32 v57, v2, v11 offset0:60 offset1:68
	s_waitcnt vmcnt(6)
	v_lshrrev_b32_e32 v2, 16, v24
	v_mul_f16_sdwa v11, v62, v2 dst_sel:DWORD dst_unused:UNUSED_PAD src0_sel:WORD_1 src1_sel:DWORD
	v_mul_f16_sdwa v13, v62, v24 dst_sel:DWORD dst_unused:UNUSED_PAD src0_sel:WORD_1 src1_sel:DWORD
	v_fma_f16 v11, v62, v24, v11
	v_fma_f16 v2, v62, v2, -v13
	v_pack_b32_f16 v2, v11, v2
	ds_write2st64_b32 v57, v8, v2 offset0:80 offset1:88
	s_waitcnt vmcnt(5)
	v_lshrrev_b32_e32 v2, 16, v23
	s_waitcnt vmcnt(4)
	v_mul_f16_sdwa v8, v61, v2 dst_sel:DWORD dst_unused:UNUSED_PAD src0_sel:WORD_1 src1_sel:DWORD
	v_mul_f16_sdwa v11, v61, v23 dst_sel:DWORD dst_unused:UNUSED_PAD src0_sel:WORD_1 src1_sel:DWORD
	v_fma_f16 v8, v61, v23, v8
	v_fma_f16 v2, v61, v2, -v11
	v_pack_b32_f16 v2, v8, v2
	ds_write2st64_b32 v57, v9, v2 offset0:100 offset1:108
	s_waitcnt vmcnt(3)
	v_lshrrev_b32_e32 v2, 16, v26
	s_waitcnt vmcnt(2)
	;; [unrolled: 9-line block ×3, first 2 shown]
	v_mul_f16_sdwa v8, v58, v2 dst_sel:DWORD dst_unused:UNUSED_PAD src0_sel:WORD_1 src1_sel:DWORD
	v_fma_f16 v8, v58, v1, v8
	v_mul_f16_sdwa v1, v58, v1 dst_sel:DWORD dst_unused:UNUSED_PAD src0_sel:WORD_1 src1_sel:DWORD
	v_fma_f16 v1, v58, v2, -v1
	v_or_b32_e32 v2, 0x400, v0
	s_mov_b64 s[0:1], 0x500
	v_cmp_gt_u64_e64 s[0:1], s[0:1], v[2:3]
	v_pack_b32_f16 v1, v8, v1
	v_lshlrev_b32_e32 v59, 2, v2
	ds_write2st64_b32 v57, v12, v1 offset0:140 offset1:148
	s_and_saveexec_b64 s[16:17], s[0:1]
	s_cbranch_execz .LBB0_3
; %bb.2:
	v_mov_b32_e32 v1, s15
	v_add_co_u32_e32 v6, vcc, s14, v6
	v_addc_co_u32_e32 v7, vcc, v7, v1, vcc
	global_load_dword v1, v[6:7], off
	global_load_dword v10, v59, s[6:7]
	v_mov_b32_e32 v11, s3
	v_add_co_u32_e32 v6, vcc, s2, v6
	v_addc_co_u32_e32 v7, vcc, v7, v11, vcc
	v_add_co_u32_e32 v8, vcc, s18, v55
	v_addc_co_u32_e32 v9, vcc, 0, v56, vcc
	global_load_dword v12, v[6:7], off
	v_add_co_u32_e32 v6, vcc, s2, v6
	v_addc_co_u32_e32 v7, vcc, v7, v11, vcc
	global_load_dword v8, v[8:9], off offset:1024
	v_or_b32_e32 v3, 0x3800, v57
	global_load_dword v9, v[6:7], off
	global_load_dword v13, v3, s[6:7]
	v_add_co_u32_e32 v6, vcc, s2, v6
	v_addc_co_u32_e32 v7, vcc, v7, v11, vcc
	global_load_dword v14, v[6:7], off
	global_load_dword v15, v[4:5], off offset:3072
	v_add_co_u32_e32 v3, vcc, s2, v6
	v_addc_co_u32_e32 v4, vcc, v7, v11, vcc
	global_load_dword v7, v[3:4], off
	v_or_b32_e32 v5, 0x6000, v57
	global_load_dword v16, v5, s[6:7]
	v_add_co_u32_e32 v3, vcc, s2, v3
	v_addc_co_u32_e32 v4, vcc, v4, v11, vcc
	s_movk_i32 s3, 0x7000
	v_or_b32_e32 v18, 0x8800, v57
	global_load_dword v18, v18, s[6:7]
	v_add_co_u32_e32 v5, vcc, s3, v55
	global_load_dword v17, v[3:4], off
	v_addc_co_u32_e32 v6, vcc, 0, v56, vcc
	global_load_dword v5, v[5:6], off offset:1024
	v_add_co_u32_e32 v3, vcc, s2, v3
	v_addc_co_u32_e32 v4, vcc, v4, v11, vcc
	global_load_dword v6, v[3:4], off
	v_add_co_u32_e32 v3, vcc, s2, v3
	v_addc_co_u32_e32 v4, vcc, v4, v11, vcc
	global_load_dword v11, v[3:4], off
	v_add_co_u32_e32 v3, vcc, 0x9000, v55
	v_addc_co_u32_e32 v4, vcc, 0, v56, vcc
	global_load_dword v3, v[3:4], off offset:3072
	s_waitcnt vmcnt(15)
	v_lshrrev_b32_e32 v4, 16, v1
	s_waitcnt vmcnt(14)
	v_mul_f16_sdwa v19, v10, v1 dst_sel:DWORD dst_unused:UNUSED_PAD src0_sel:WORD_1 src1_sel:DWORD
	v_mul_f16_sdwa v20, v10, v4 dst_sel:DWORD dst_unused:UNUSED_PAD src0_sel:WORD_1 src1_sel:DWORD
	v_fma_f16 v4, v10, v4, -v19
	v_fma_f16 v1, v10, v1, v20
	v_pack_b32_f16 v1, v1, v4
	s_waitcnt vmcnt(13)
	v_lshrrev_b32_e32 v19, 16, v12
	s_waitcnt vmcnt(12)
	v_mul_f16_sdwa v21, v8, v12 dst_sel:DWORD dst_unused:UNUSED_PAD src0_sel:WORD_1 src1_sel:DWORD
	v_mul_f16_sdwa v10, v8, v19 dst_sel:DWORD dst_unused:UNUSED_PAD src0_sel:WORD_1 src1_sel:DWORD
	s_waitcnt vmcnt(11)
	v_lshrrev_b32_e32 v20, 16, v9
	v_fma_f16 v19, v8, v19, -v21
	s_waitcnt vmcnt(10)
	v_mul_f16_sdwa v21, v13, v9 dst_sel:DWORD dst_unused:UNUSED_PAD src0_sel:WORD_1 src1_sel:DWORD
	v_fma_f16 v4, v8, v12, v10
	v_mul_f16_sdwa v8, v13, v20 dst_sel:DWORD dst_unused:UNUSED_PAD src0_sel:WORD_1 src1_sel:DWORD
	v_fma_f16 v10, v13, v20, -v21
	s_waitcnt vmcnt(9)
	v_lshrrev_b32_e32 v12, 16, v14
	v_pack_b32_f16 v4, v4, v19
	v_fma_f16 v8, v13, v9, v8
	s_waitcnt vmcnt(8)
	v_mul_f16_sdwa v9, v15, v12 dst_sel:DWORD dst_unused:UNUSED_PAD src0_sel:WORD_1 src1_sel:DWORD
	ds_write2st64_b32 v57, v1, v4 offset0:16 offset1:36
	v_pack_b32_f16 v1, v8, v10
	v_mul_f16_sdwa v8, v15, v14 dst_sel:DWORD dst_unused:UNUSED_PAD src0_sel:WORD_1 src1_sel:DWORD
	v_fma_f16 v4, v15, v14, v9
	v_fma_f16 v8, v15, v12, -v8
	v_pack_b32_f16 v4, v4, v8
	ds_write2st64_b32 v57, v1, v4 offset0:56 offset1:76
	s_waitcnt vmcnt(7)
	v_lshrrev_b32_e32 v1, 16, v7
	s_waitcnt vmcnt(6)
	v_mul_f16_sdwa v4, v16, v1 dst_sel:DWORD dst_unused:UNUSED_PAD src0_sel:WORD_1 src1_sel:DWORD
	v_fma_f16 v4, v16, v7, v4
	v_mul_f16_sdwa v7, v16, v7 dst_sel:DWORD dst_unused:UNUSED_PAD src0_sel:WORD_1 src1_sel:DWORD
	v_fma_f16 v1, v16, v1, -v7
	v_pack_b32_f16 v1, v4, v1
	s_waitcnt vmcnt(4)
	v_lshrrev_b32_e32 v4, 16, v17
	s_waitcnt vmcnt(3)
	v_mul_f16_sdwa v7, v5, v4 dst_sel:DWORD dst_unused:UNUSED_PAD src0_sel:WORD_1 src1_sel:DWORD
	v_mul_f16_sdwa v8, v5, v17 dst_sel:DWORD dst_unused:UNUSED_PAD src0_sel:WORD_1 src1_sel:DWORD
	v_fma_f16 v7, v5, v17, v7
	v_fma_f16 v4, v5, v4, -v8
	v_pack_b32_f16 v4, v7, v4
	ds_write2st64_b32 v57, v1, v4 offset0:96 offset1:116
	s_waitcnt vmcnt(2)
	v_lshrrev_b32_e32 v1, 16, v6
	v_mul_f16_sdwa v4, v18, v1 dst_sel:DWORD dst_unused:UNUSED_PAD src0_sel:WORD_1 src1_sel:DWORD
	v_mul_f16_sdwa v5, v18, v6 dst_sel:DWORD dst_unused:UNUSED_PAD src0_sel:WORD_1 src1_sel:DWORD
	v_fma_f16 v4, v18, v6, v4
	v_fma_f16 v1, v18, v1, -v5
	v_pack_b32_f16 v1, v4, v1
	s_waitcnt vmcnt(1)
	v_lshrrev_b32_e32 v4, 16, v11
	s_waitcnt vmcnt(0)
	v_mul_f16_sdwa v5, v3, v4 dst_sel:DWORD dst_unused:UNUSED_PAD src0_sel:WORD_1 src1_sel:DWORD
	v_mul_f16_sdwa v6, v3, v11 dst_sel:DWORD dst_unused:UNUSED_PAD src0_sel:WORD_1 src1_sel:DWORD
	v_fma_f16 v5, v3, v11, v5
	v_fma_f16 v3, v3, v4, -v6
	v_pack_b32_f16 v3, v5, v3
	ds_write2st64_b32 v57, v1, v3 offset0:136 offset1:156
.LBB0_3:
	s_or_b64 exec, exec, s[16:17]
	s_waitcnt lgkmcnt(0)
	s_barrier
	ds_read2st64_b32 v[5:6], v57 offset1:8
	ds_read2st64_b32 v[3:4], v57 offset0:20 offset1:28
	ds_read2st64_b32 v[9:10], v57 offset0:40 offset1:48
	ds_read2st64_b32 v[7:8], v57 offset0:60 offset1:68
	ds_read2st64_b32 v[21:22], v57 offset0:80 offset1:88
	ds_read2st64_b32 v[19:20], v57 offset0:100 offset1:108
	ds_read2st64_b32 v[25:26], v57 offset0:120 offset1:128
	ds_read2st64_b32 v[23:24], v57 offset0:140 offset1:148
	s_load_dwordx2 s[2:3], s[4:5], 0x8
                                        ; implicit-def: $vgpr11
                                        ; implicit-def: $vgpr14
                                        ; implicit-def: $vgpr15
                                        ; implicit-def: $vgpr17
	s_and_saveexec_b64 s[4:5], s[0:1]
	s_cbranch_execz .LBB0_5
; %bb.4:
	ds_read2st64_b32 v[11:12], v57 offset0:16 offset1:36
	ds_read2st64_b32 v[15:16], v57 offset0:56 offset1:136
	;; [unrolled: 1-line block ×4, first 2 shown]
.LBB0_5:
	s_or_b64 exec, exec, s[4:5]
	s_waitcnt lgkmcnt(0)
	v_pk_add_f16 v21, v5, v21 neg_lo:[0,1] neg_hi:[0,1]
	v_pk_add_f16 v25, v9, v25 neg_lo:[0,1] neg_hi:[0,1]
	;; [unrolled: 1-line block ×4, first 2 shown]
	v_sub_f16_sdwa v1, v21, v25 dst_sel:DWORD dst_unused:UNUSED_PAD src0_sel:DWORD src1_sel:WORD_1
	v_lshrrev_b32_e32 v28, 16, v21
	v_sub_f16_sdwa v33, v19, v23 dst_sel:DWORD dst_unused:UNUSED_PAD src0_sel:DWORD src1_sel:WORD_1
	v_lshrrev_b32_e32 v34, 16, v19
	v_add_f16_e32 v29, v28, v25
	v_fma_f16 v32, v21, 2.0, -v1
	v_add_f16_e32 v35, v34, v23
	v_fma_f16 v36, v19, 2.0, -v33
	s_mov_b32 s4, 0xb9a8
	v_fma_f16 v28, v28, 2.0, -v29
	v_fma_f16 v34, v34, 2.0, -v35
	v_fma_f16 v37, v36, s4, v32
	s_movk_i32 s5, 0x39a8
	v_fma_f16 v38, v34, s4, v28
	v_fma_f16 v37, v34, s4, v37
	;; [unrolled: 1-line block ×3, first 2 shown]
	v_pk_add_f16 v46, v6, v22 neg_lo:[0,1] neg_hi:[0,1]
	v_pk_add_f16 v47, v4, v20 neg_lo:[0,1] neg_hi:[0,1]
	v_fma_f16 v36, v36, s5, v38
	v_fma_f16 v38, v32, 2.0, -v37
	v_fma_f16 v32, v33, s5, v1
	v_fma_f16 v44, v33, s5, v34
	v_pk_add_f16 v26, v10, v26 neg_lo:[0,1] neg_hi:[0,1]
	v_pk_add_f16 v24, v8, v24 neg_lo:[0,1] neg_hi:[0,1]
	v_lshrrev_b32_e32 v20, 16, v46
	v_lshrrev_b32_e32 v34, 16, v47
	v_fma_f16 v35, v35, s4, v32
	v_add_f16_e32 v22, v20, v26
	v_add_f16_e32 v48, v34, v24
	v_fma_f16 v45, v1, 2.0, -v35
	v_sub_f16_sdwa v1, v46, v26 dst_sel:DWORD dst_unused:UNUSED_PAD src0_sel:DWORD src1_sel:WORD_1
	v_fma_f16 v20, v20, 2.0, -v22
	v_sub_f16_sdwa v33, v47, v24 dst_sel:DWORD dst_unused:UNUSED_PAD src0_sel:DWORD src1_sel:WORD_1
	v_fma_f16 v34, v34, 2.0, -v48
	v_fma_f16 v32, v46, 2.0, -v1
	;; [unrolled: 1-line block ×3, first 2 shown]
	v_fma_f16 v51, v34, s4, v20
	v_fma_f16 v50, v49, s4, v32
	;; [unrolled: 1-line block ×4, first 2 shown]
	v_fma_f16 v52, v20, 2.0, -v49
	v_fma_f16 v20, v33, s5, v1
	v_fma_f16 v51, v32, 2.0, -v50
	v_fma_f16 v32, v48, s5, v22
	v_fma_f16 v48, v48, s4, v20
	;; [unrolled: 1-line block ×3, first 2 shown]
	v_fma_f16 v54, v1, 2.0, -v48
	v_pk_add_f16 v1, v11, v14 neg_lo:[0,1] neg_hi:[0,1]
	v_pk_add_f16 v20, v15, v16 neg_lo:[0,1] neg_hi:[0,1]
	v_fma_f16 v74, v22, 2.0, -v53
	v_pk_add_f16 v22, v12, v17 neg_lo:[0,1] neg_hi:[0,1]
	v_pk_add_f16 v32, v13, v18 neg_lo:[0,1] neg_hi:[0,1]
	v_sub_f16_sdwa v14, v1, v20 dst_sel:DWORD dst_unused:UNUSED_PAD src0_sel:DWORD src1_sel:WORD_1
	v_lshrrev_b32_e32 v18, 16, v1
	v_fma_f16 v17, v1, 2.0, -v14
	v_pk_fma_f16 v1, v11, 2.0, v1 op_sel_hi:[1,0,1] neg_lo:[0,0,1] neg_hi:[0,0,1]
	v_pk_fma_f16 v11, v15, 2.0, v20 op_sel_hi:[1,0,1] neg_lo:[0,0,1] neg_hi:[0,0,1]
	;; [unrolled: 1-line block ×4, first 2 shown]
	v_pk_add_f16 v11, v1, v11 neg_lo:[0,1] neg_hi:[0,1]
	v_pk_add_f16 v13, v15, v13 neg_lo:[0,1] neg_hi:[0,1]
	v_add_f16_e32 v16, v20, v18
	v_pk_fma_f16 v12, v1, 2.0, v11 op_sel_hi:[1,0,1] neg_lo:[0,0,1] neg_hi:[0,0,1]
	v_pk_fma_f16 v1, v15, 2.0, v13 op_sel_hi:[1,0,1] neg_lo:[0,0,1] neg_hi:[0,0,1]
	v_sub_f16_sdwa v15, v22, v32 dst_sel:DWORD dst_unused:UNUSED_PAD src0_sel:DWORD src1_sel:WORD_1
	v_lshrrev_b32_e32 v20, 16, v22
	v_pk_fma_f16 v5, v5, 2.0, v21 op_sel_hi:[1,0,1] neg_lo:[0,0,1] neg_hi:[0,0,1]
	v_pk_fma_f16 v9, v9, 2.0, v25 op_sel_hi:[1,0,1] neg_lo:[0,0,1] neg_hi:[0,0,1]
	;; [unrolled: 1-line block ×4, first 2 shown]
	v_add_f16_e32 v34, v32, v20
	v_fma_f16 v22, v22, 2.0, -v15
	v_pk_add_f16 v9, v5, v9 neg_lo:[0,1] neg_hi:[0,1]
	v_pk_add_f16 v7, v3, v7 neg_lo:[0,1] neg_hi:[0,1]
	v_fma_f16 v18, v18, 2.0, -v16
	v_fma_f16 v20, v20, 2.0, -v34
	v_fma_f16 v32, v22, s4, v17
	v_pk_fma_f16 v5, v5, 2.0, v9 op_sel_hi:[1,0,1] neg_lo:[0,0,1] neg_hi:[0,0,1]
	v_pk_fma_f16 v3, v3, 2.0, v7 op_sel_hi:[1,0,1] neg_lo:[0,0,1] neg_hi:[0,0,1]
	v_fma_f16 v33, v20, s4, v18
	v_fma_f16 v32, v20, s4, v32
	;; [unrolled: 1-line block ×3, first 2 shown]
	v_pk_add_f16 v19, v5, v3 neg_lo:[0,1] neg_hi:[0,1]
	v_fma_f16 v80, v15, s5, v20
	v_pk_fma_f16 v20, v5, 2.0, v19 op_sel_hi:[1,0,1] neg_lo:[0,0,1] neg_hi:[0,0,1]
	v_lshrrev_b32_e32 v5, 16, v9
	v_sub_f16_sdwa v3, v9, v7 dst_sel:DWORD dst_unused:UNUSED_PAD src0_sel:DWORD src1_sel:WORD_1
	v_add_f16_e32 v7, v5, v7
	v_fma_f16 v28, v28, 2.0, -v36
	v_fma_f16 v29, v29, 2.0, -v44
	v_fma_f16 v9, v9, 2.0, -v3
	v_fma_f16 v5, v5, 2.0, -v7
	v_fma_f16 v79, v22, s5, v33
	v_lshlrev_b32_e32 v81, 5, v0
	v_pack_b32_f16 v23, v45, v29
	v_pack_b32_f16 v22, v9, v5
	;; [unrolled: 1-line block ×3, first 2 shown]
	s_barrier
	ds_write_b128 v81, v[20:23]
	v_pack_b32_f16 v21, v3, v7
	v_pk_fma_f16 v3, v6, 2.0, v46 op_sel_hi:[1,0,1] neg_lo:[0,0,1] neg_hi:[0,0,1]
	v_pk_fma_f16 v5, v10, 2.0, v26 op_sel_hi:[1,0,1] neg_lo:[0,0,1] neg_hi:[0,0,1]
	;; [unrolled: 1-line block ×4, first 2 shown]
	v_pk_add_f16 v5, v3, v5 neg_lo:[0,1] neg_hi:[0,1]
	v_pk_add_f16 v6, v4, v6 neg_lo:[0,1] neg_hi:[0,1]
	v_pk_fma_f16 v7, v3, 2.0, v5 op_sel_hi:[1,0,1] neg_lo:[0,0,1] neg_hi:[0,0,1]
	v_pk_fma_f16 v3, v4, 2.0, v6 op_sel_hi:[1,0,1] neg_lo:[0,0,1] neg_hi:[0,0,1]
	v_pk_add_f16 v3, v7, v3 neg_lo:[0,1] neg_hi:[0,1]
	v_pk_fma_f16 v4, v7, 2.0, v3 op_sel_hi:[1,0,1] neg_lo:[0,0,1] neg_hi:[0,0,1]
	v_lshrrev_b32_e32 v7, 16, v5
	v_sub_f16_sdwa v8, v5, v6 dst_sel:DWORD dst_unused:UNUSED_PAD src0_sel:DWORD src1_sel:WORD_1
	v_add_f16_e32 v9, v7, v6
	v_or_b32_e32 v27, 0x200, v0
	v_fma_f16 v5, v5, 2.0, -v8
	v_fma_f16 v6, v7, 2.0, -v9
	v_pk_add_f16 v33, v11, v13 op_sel:[0,1] op_sel_hi:[1,0] neg_lo:[0,1] neg_hi:[0,1]
	v_pk_add_f16 v98, v11, v13 op_sel:[0,1] op_sel_hi:[1,0]
	v_fma_f16 v13, v15, s5, v14
	v_lshlrev_b32_e32 v82, 5, v27
	v_pack_b32_f16 v7, v54, v74
	v_pack_b32_f16 v6, v5, v6
	;; [unrolled: 1-line block ×3, first 2 shown]
	s_movk_i32 s14, 0x4000
	v_pk_add_f16 v1, v12, v1 neg_lo:[0,1] neg_hi:[0,1]
	v_fma_f16 v34, v34, s4, v13
	v_pack_b32_f16 v22, v35, v44
	v_pack_b32_f16 v20, v37, v36
	ds_write_b128 v82, v[4:7]
	v_pack_b32_f16 v6, v48, v53
	v_pack_b32_f16 v5, v8, v9
	;; [unrolled: 1-line block ×3, first 2 shown]
	v_lshlrev_b32_e32 v78, 5, v2
	ds_write_b128 v81, v[19:22] offset:16
	ds_write_b128 v82, v[3:6] offset:16
	s_and_saveexec_b64 s[4:5], s[0:1]
	s_cbranch_execz .LBB0_7
; %bb.6:
	s_mov_b32 s15, 0xffff
	v_bfi_b32 v3, s15, v33, v98
	v_fma_f16 v2, v14, 2.0, -v34
	v_fma_f16 v5, v16, 2.0, -v80
	;; [unrolled: 1-line block ×4, first 2 shown]
	v_pk_fma_f16 v4, v12, 2.0, v1 op_sel_hi:[1,0,1] neg_lo:[0,0,1] neg_hi:[0,0,1]
	v_pk_fma_f16 v6, v11, 2.0, v3 op_sel_hi:[1,0,1] neg_lo:[0,0,1] neg_hi:[0,0,1]
	v_pack_b32_f16 v7, v2, v5
	v_pack_b32_f16 v5, v8, v9
	s_mov_b32 s15, 0x5040100
	ds_write_b128 v78, v[4:7]
	v_perm_b32 v4, v80, v34, s15
	v_perm_b32 v2, v79, v32, s15
	ds_write_b128 v78, v[1:4] offset:16
.LBB0_7:
	s_or_b64 exec, exec, s[4:5]
	v_and_b32_e32 v23, 7, v0
	v_mad_u64_u32 v[2:3], s[4:5], v23, 12, s[2:3]
	s_waitcnt lgkmcnt(0)
	s_barrier
	global_load_dwordx3 v[6:8], v[2:3], off
	ds_read2st64_b32 v[2:3], v57 offset1:8
	ds_read2st64_b32 v[4:5], v57 offset0:32 offset1:40
	ds_read2st64_b32 v[9:10], v57 offset0:64 offset1:80
	;; [unrolled: 1-line block ×8, first 2 shown]
	ds_read_b32 v24, v57 offset:36864
	ds_read_b32 v25, v57 offset:38912
	s_waitcnt lgkmcnt(9)
	v_lshrrev_b32_e32 v28, 16, v5
	s_waitcnt lgkmcnt(7)
	v_lshrrev_b32_e32 v74, 16, v11
	;; [unrolled: 2-line block ×3, first 2 shown]
	v_lshrrev_b32_e32 v29, 16, v10
	v_lshrrev_b32_e32 v35, 16, v12
	s_waitcnt lgkmcnt(0)
	v_lshrrev_b32_e32 v76, 16, v25
	v_lshrrev_b32_e32 v26, 16, v2
	;; [unrolled: 1-line block ×6, first 2 shown]
	s_movk_i32 s4, 0x7e0
	v_lshrrev_b32_e32 v36, 16, v3
	v_lshrrev_b32_e32 v46, 16, v14
	;; [unrolled: 1-line block ×4, first 2 shown]
	s_waitcnt vmcnt(0)
	s_barrier
	v_lshrrev_b32_e32 v45, 16, v19
	v_lshrrev_b32_e32 v50, 16, v9
	;; [unrolled: 1-line block ×5, first 2 shown]
	s_mov_b32 s15, 0xbb9c
	s_mov_b32 s16, 0xb8b4
	v_mul_f16_sdwa v77, v28, v6 dst_sel:DWORD dst_unused:UNUSED_PAD src0_sel:DWORD src1_sel:WORD_1
	v_mul_f16_sdwa v107, v54, v6 dst_sel:DWORD dst_unused:UNUSED_PAD src0_sel:DWORD src1_sel:WORD_1
	;; [unrolled: 1-line block ×3, first 2 shown]
	v_fma_f16 v5, v5, v6, -v77
	v_fma_f16 v77, v21, v6, -v107
	v_mul_f16_sdwa v21, v21, v6 dst_sel:DWORD dst_unused:UNUSED_PAD src0_sel:DWORD src1_sel:WORD_1
	v_fma_f16 v21, v54, v6, v21
	v_mul_f16_sdwa v54, v74, v7 dst_sel:DWORD dst_unused:UNUSED_PAD src0_sel:DWORD src1_sel:WORD_1
	v_fma_f16 v54, v11, v7, -v54
	v_mul_f16_sdwa v11, v11, v7 dst_sel:DWORD dst_unused:UNUSED_PAD src0_sel:DWORD src1_sel:WORD_1
	v_mul_f16_sdwa v84, v29, v7 dst_sel:DWORD dst_unused:UNUSED_PAD src0_sel:DWORD src1_sel:WORD_1
	;; [unrolled: 1-line block ×5, first 2 shown]
	v_fma_f16 v11, v74, v7, v11
	v_mul_f16_sdwa v74, v76, v8 dst_sel:DWORD dst_unused:UNUSED_PAD src0_sel:DWORD src1_sel:WORD_1
	v_fma_f16 v28, v28, v6, v83
	v_fma_f16 v10, v10, v7, -v84
	v_fma_f16 v29, v29, v7, v85
	v_fma_f16 v12, v12, v8, -v86
	;; [unrolled: 2-line block ×3, first 2 shown]
	v_mul_f16_sdwa v25, v25, v8 dst_sel:DWORD dst_unused:UNUSED_PAD src0_sel:DWORD src1_sel:WORD_1
	v_sub_f16_e32 v10, v2, v10
	v_sub_f16_e32 v29, v26, v29
	;; [unrolled: 1-line block ×6, first 2 shown]
	v_fma_f16 v25, v76, v8, v25
	v_fma_f16 v2, v2, 2.0, -v10
	v_fma_f16 v26, v26, 2.0, -v29
	;; [unrolled: 1-line block ×6, first 2 shown]
	v_mul_f16_sdwa v88, v37, v6 dst_sel:DWORD dst_unused:UNUSED_PAD src0_sel:DWORD src1_sel:WORD_1
	v_mul_f16_sdwa v89, v13, v6 dst_sel:DWORD dst_unused:UNUSED_PAD src0_sel:DWORD src1_sel:WORD_1
	;; [unrolled: 1-line block ×6, first 2 shown]
	v_sub_f16_e32 v5, v2, v5
	v_sub_f16_e32 v28, v26, v28
	;; [unrolled: 1-line block ×3, first 2 shown]
	v_add_f16_e32 v12, v29, v12
	v_sub_f16_e32 v76, v4, v76
	v_fma_f16 v13, v13, v6, -v88
	v_fma_f16 v37, v37, v6, v89
	v_fma_f16 v15, v15, v7, -v90
	v_fma_f16 v38, v38, v7, v91
	;; [unrolled: 2-line block ×3, first 2 shown]
	v_fma_f16 v2, v2, 2.0, -v5
	v_fma_f16 v26, v26, 2.0, -v28
	;; [unrolled: 1-line block ×5, first 2 shown]
	v_and_or_b32 v4, v57, s4, v23
	v_sub_f16_e32 v15, v3, v15
	v_sub_f16_e32 v38, v36, v38
	;; [unrolled: 1-line block ×4, first 2 shown]
	v_lshlrev_b32_e32 v83, 2, v4
	v_pack_b32_f16 v2, v2, v26
	v_pack_b32_f16 v4, v10, v29
	v_mul_f16_sdwa v94, v46, v6 dst_sel:DWORD dst_unused:UNUSED_PAD src0_sel:DWORD src1_sel:WORD_1
	v_mul_f16_sdwa v95, v14, v6 dst_sel:DWORD dst_unused:UNUSED_PAD src0_sel:DWORD src1_sel:WORD_1
	;; [unrolled: 1-line block ×6, first 2 shown]
	v_fma_f16 v3, v3, 2.0, -v15
	v_fma_f16 v36, v36, 2.0, -v38
	;; [unrolled: 1-line block ×4, first 2 shown]
	ds_write2_b32 v83, v2, v4 offset1:8
	v_pack_b32_f16 v2, v5, v28
	v_pack_b32_f16 v4, v35, v12
	v_fma_f16 v14, v14, v6, -v94
	v_fma_f16 v46, v46, v6, v95
	v_fma_f16 v16, v16, v7, -v96
	v_fma_f16 v47, v47, v7, v97
	;; [unrolled: 2-line block ×3, first 2 shown]
	v_sub_f16_e32 v13, v3, v13
	v_sub_f16_e32 v37, v36, v37
	;; [unrolled: 1-line block ×3, first 2 shown]
	v_add_f16_e32 v17, v38, v17
	ds_write2_b32 v83, v2, v4 offset0:16 offset1:24
	v_lshlrev_b32_e32 v2, 2, v27
	s_movk_i32 s4, 0xfe0
	v_fma_f16 v3, v3, 2.0, -v13
	v_fma_f16 v36, v36, 2.0, -v37
	;; [unrolled: 1-line block ×4, first 2 shown]
	v_sub_f16_e32 v16, v19, v16
	v_sub_f16_e32 v47, v45, v47
	;; [unrolled: 1-line block ×4, first 2 shown]
	v_and_or_b32 v4, v2, s4, v23
	v_fma_f16 v19, v19, 2.0, -v16
	v_fma_f16 v45, v45, 2.0, -v47
	v_fma_f16 v14, v14, 2.0, -v18
	v_fma_f16 v46, v46, 2.0, -v48
	v_lshlrev_b32_e32 v84, 2, v4
	v_pack_b32_f16 v3, v3, v36
	v_pack_b32_f16 v4, v15, v38
	v_mul_f16_sdwa v101, v50, v6 dst_sel:DWORD dst_unused:UNUSED_PAD src0_sel:DWORD src1_sel:WORD_1
	v_mul_f16_sdwa v102, v9, v6 dst_sel:DWORD dst_unused:UNUSED_PAD src0_sel:DWORD src1_sel:WORD_1
	v_mul_f16_sdwa v103, v51, v7 dst_sel:DWORD dst_unused:UNUSED_PAD src0_sel:DWORD src1_sel:WORD_1
	v_mul_f16_sdwa v104, v22, v7 dst_sel:DWORD dst_unused:UNUSED_PAD src0_sel:DWORD src1_sel:WORD_1
	v_mul_f16_sdwa v105, v52, v8 dst_sel:DWORD dst_unused:UNUSED_PAD src0_sel:DWORD src1_sel:WORD_1
	v_mul_f16_sdwa v106, v24, v8 dst_sel:DWORD dst_unused:UNUSED_PAD src0_sel:DWORD src1_sel:WORD_1
	v_sub_f16_e32 v14, v19, v14
	v_sub_f16_e32 v46, v45, v46
	;; [unrolled: 1-line block ×3, first 2 shown]
	v_add_f16_e32 v18, v47, v18
	ds_write2_b32 v84, v3, v4 offset1:8
	v_pack_b32_f16 v3, v13, v37
	v_pack_b32_f16 v4, v44, v17
	s_movk_i32 s4, 0x17e0
	v_fma_f16 v9, v9, v6, -v101
	v_fma_f16 v50, v50, v6, v102
	v_fma_f16 v22, v22, v7, -v103
	v_fma_f16 v51, v51, v7, v104
	;; [unrolled: 2-line block ×3, first 2 shown]
	v_fma_f16 v19, v19, 2.0, -v14
	v_fma_f16 v45, v45, 2.0, -v46
	;; [unrolled: 1-line block ×4, first 2 shown]
	ds_write2_b32 v84, v3, v4 offset0:16 offset1:24
	v_and_or_b32 v3, v59, s4, v23
	v_sub_f16_e32 v22, v20, v22
	v_sub_f16_e32 v51, v49, v51
	;; [unrolled: 1-line block ×4, first 2 shown]
	v_lshlrev_b32_e32 v85, 2, v3
	v_pack_b32_f16 v3, v19, v45
	v_pack_b32_f16 v4, v16, v47
	v_fma_f16 v20, v20, 2.0, -v22
	v_fma_f16 v49, v49, 2.0, -v51
	;; [unrolled: 1-line block ×4, first 2 shown]
	ds_write2_b32 v85, v3, v4 offset1:8
	v_pack_b32_f16 v3, v14, v46
	v_pack_b32_f16 v4, v48, v18
	v_sub_f16_e32 v9, v20, v9
	v_sub_f16_e32 v50, v49, v50
	;; [unrolled: 1-line block ×3, first 2 shown]
	v_add_f16_e32 v24, v51, v24
	ds_write2_b32 v85, v3, v4 offset0:16 offset1:24
	v_or_b32_e32 v3, 0x1800, v57
	s_movk_i32 s4, 0x1fe0
	v_fma_f16 v20, v20, 2.0, -v9
	v_fma_f16 v49, v49, 2.0, -v50
	;; [unrolled: 1-line block ×4, first 2 shown]
	v_and_or_b32 v4, v3, s4, v23
	v_sub_f16_e32 v11, v53, v11
	v_sub_f16_e32 v25, v21, v25
	v_lshlrev_b32_e32 v86, 2, v4
	v_pack_b32_f16 v4, v20, v49
	v_pack_b32_f16 v5, v22, v51
	v_fma_f16 v53, v53, 2.0, -v11
	v_fma_f16 v21, v21, 2.0, -v25
	ds_write2_b32 v86, v4, v5 offset1:8
	v_pack_b32_f16 v4, v9, v50
	v_pack_b32_f16 v5, v52, v24
	v_sub_f16_e32 v21, v53, v21
	v_sub_f16_e32 v25, v54, v25
	v_add_f16_e32 v74, v11, v74
	ds_write2_b32 v86, v4, v5 offset0:16 offset1:24
	v_or_b32_e32 v4, 0x2000, v57
	s_movk_i32 s4, 0x27e0
	v_fma_f16 v53, v53, 2.0, -v21
	v_fma_f16 v54, v54, 2.0, -v25
	;; [unrolled: 1-line block ×3, first 2 shown]
	v_and_or_b32 v5, v4, s4, v23
	v_lshlrev_b32_e32 v87, 2, v5
	v_pack_b32_f16 v5, v77, v53
	v_pack_b32_f16 v9, v54, v11
	ds_write2_b32 v87, v5, v9 offset1:8
	v_pack_b32_f16 v5, v76, v21
	v_pack_b32_f16 v9, v25, v74
	ds_write2_b32 v87, v5, v9 offset0:16 offset1:24
	v_and_b32_e32 v5, 31, v0
	v_mad_u64_u32 v[9:10], s[4:5], v5, 12, s[2:3]
	s_waitcnt lgkmcnt(0)
	s_barrier
	global_load_dwordx3 v[9:11], v[9:10], off offset:96
	ds_read2st64_b32 v[12:13], v57 offset1:8
	ds_read2st64_b32 v[14:15], v57 offset0:32 offset1:40
	ds_read2st64_b32 v[16:17], v57 offset0:64 offset1:80
	;; [unrolled: 1-line block ×8, first 2 shown]
	s_waitcnt lgkmcnt(7)
	v_lshrrev_b32_e32 v36, 16, v15
	s_waitcnt lgkmcnt(6)
	v_lshrrev_b32_e32 v37, 16, v17
	;; [unrolled: 2-line block ×6, first 2 shown]
	v_lshrrev_b32_e32 v49, 16, v21
	v_lshrrev_b32_e32 v50, 16, v23
	;; [unrolled: 1-line block ×3, first 2 shown]
	ds_read_b32 v52, v57 offset:36864
	ds_read_b32 v76, v57 offset:38912
	v_lshrrev_b32_e32 v54, 16, v16
	s_waitcnt lgkmcnt(2)
	v_lshrrev_b32_e32 v74, 16, v29
	v_lshrrev_b32_e32 v89, 16, v28
	s_waitcnt lgkmcnt(1)
	v_lshrrev_b32_e32 v77, 16, v52
	;; [unrolled: 3-line block ×3, first 2 shown]
	v_lshrrev_b32_e32 v35, 16, v12
	v_lshrrev_b32_e32 v88, 16, v14
	;; [unrolled: 1-line block ×3, first 2 shown]
	s_movk_i32 s4, 0x780
	v_lshrrev_b32_e32 v48, 16, v26
	s_waitcnt vmcnt(0)
	s_barrier
	v_lshrrev_b32_e32 v53, 16, v27
	v_mul_f16_sdwa v92, v36, v9 dst_sel:DWORD dst_unused:UNUSED_PAD src0_sel:DWORD src1_sel:WORD_1
	v_fma_f16 v92, v15, v9, -v92
	v_mul_f16_sdwa v15, v15, v9 dst_sel:DWORD dst_unused:UNUSED_PAD src0_sel:DWORD src1_sel:WORD_1
	v_fma_f16 v15, v36, v9, v15
	v_mul_f16_sdwa v36, v37, v10 dst_sel:DWORD dst_unused:UNUSED_PAD src0_sel:DWORD src1_sel:WORD_1
	v_fma_f16 v36, v17, v10, -v36
	v_mul_f16_sdwa v17, v17, v10 dst_sel:DWORD dst_unused:UNUSED_PAD src0_sel:DWORD src1_sel:WORD_1
	v_fma_f16 v17, v37, v10, v17
	;; [unrolled: 4-line block ×15, first 2 shown]
	v_sub_f16_e32 v36, v12, v36
	v_sub_f16_e32 v17, v35, v17
	;; [unrolled: 1-line block ×6, first 2 shown]
	v_fma_f16 v12, v12, 2.0, -v36
	v_fma_f16 v35, v35, 2.0, -v17
	;; [unrolled: 1-line block ×6, first 2 shown]
	v_sub_f16_e32 v91, v12, v91
	v_sub_f16_e32 v15, v35, v15
	;; [unrolled: 1-line block ×3, first 2 shown]
	v_add_f16_e32 v37, v17, v37
	v_sub_f16_e32 v28, v88, v28
	v_fma_f16 v12, v12, 2.0, -v91
	v_fma_f16 v35, v35, 2.0, -v15
	;; [unrolled: 1-line block ×4, first 2 shown]
	v_sub_f16_e32 v45, v13, v45
	v_sub_f16_e32 v22, v44, v22
	;; [unrolled: 1-line block ×4, first 2 shown]
	v_fma_f16 v93, v88, 2.0, -v28
	v_and_or_b32 v88, v57, s4, v5
	v_fma_f16 v13, v13, 2.0, -v45
	v_fma_f16 v44, v44, 2.0, -v22
	;; [unrolled: 1-line block ×4, first 2 shown]
	v_lshlrev_b32_e32 v88, 2, v88
	v_pack_b32_f16 v12, v12, v35
	v_pack_b32_f16 v17, v36, v17
	v_sub_f16_e32 v38, v13, v38
	v_sub_f16_e32 v20, v44, v20
	;; [unrolled: 1-line block ×3, first 2 shown]
	v_add_f16_e32 v46, v22, v46
	v_sub_f16_e32 v89, v14, v89
	ds_write2_b32 v88, v12, v17 offset1:32
	v_pack_b32_f16 v12, v91, v15
	v_pack_b32_f16 v15, v19, v37
	s_movk_i32 s4, 0xf80
	v_fma_f16 v13, v13, 2.0, -v38
	v_fma_f16 v44, v44, 2.0, -v20
	v_fma_f16 v45, v45, 2.0, -v24
	v_fma_f16 v22, v22, 2.0, -v46
	v_sub_f16_e32 v49, v26, v49
	v_sub_f16_e32 v23, v48, v23
	;; [unrolled: 1-line block ×5, first 2 shown]
	ds_write2_b32 v88, v12, v15 offset0:64 offset1:96
	v_and_or_b32 v12, v2, s4, v5
	v_fma_f16 v26, v26, 2.0, -v49
	v_fma_f16 v48, v48, 2.0, -v23
	;; [unrolled: 1-line block ×6, first 2 shown]
	v_lshlrev_b32_e32 v89, 2, v12
	v_pack_b32_f16 v12, v13, v44
	v_pack_b32_f16 v13, v45, v22
	v_sub_f16_e32 v47, v26, v47
	v_sub_f16_e32 v21, v48, v21
	;; [unrolled: 1-line block ×3, first 2 shown]
	v_add_f16_e32 v50, v23, v50
	ds_write2_b32 v89, v12, v13 offset1:32
	v_pack_b32_f16 v12, v38, v20
	v_pack_b32_f16 v13, v24, v46
	s_movk_i32 s4, 0x1780
	v_fma_f16 v26, v26, 2.0, -v47
	v_fma_f16 v48, v48, 2.0, -v21
	v_fma_f16 v49, v49, 2.0, -v25
	v_fma_f16 v23, v23, 2.0, -v50
	v_sub_f16_e32 v54, v27, v54
	v_sub_f16_e32 v29, v53, v29
	;; [unrolled: 1-line block ×5, first 2 shown]
	ds_write2_b32 v89, v12, v13 offset0:64 offset1:96
	v_and_or_b32 v12, v59, s4, v5
	v_fma_f16 v27, v27, 2.0, -v54
	v_fma_f16 v53, v53, 2.0, -v29
	;; [unrolled: 1-line block ×5, first 2 shown]
	v_add_f16_e32 v94, v18, v90
	v_lshlrev_b32_e32 v90, 2, v12
	v_pack_b32_f16 v12, v26, v48
	v_pack_b32_f16 v13, v49, v23
	v_sub_f16_e32 v51, v27, v51
	v_sub_f16_e32 v16, v53, v16
	v_sub_f16_e32 v52, v54, v52
	v_add_f16_e32 v74, v29, v74
	ds_write2_b32 v90, v12, v13 offset1:32
	v_pack_b32_f16 v12, v47, v21
	v_pack_b32_f16 v13, v25, v50
	s_movk_i32 s4, 0x1f80
	v_fma_f16 v27, v27, 2.0, -v51
	v_fma_f16 v53, v53, 2.0, -v16
	;; [unrolled: 1-line block ×4, first 2 shown]
	ds_write2_b32 v90, v12, v13 offset0:64 offset1:96
	v_and_or_b32 v12, v3, s4, v5
	v_sub_f16_e32 v77, v14, v77
	v_lshlrev_b32_e32 v91, 2, v12
	v_pack_b32_f16 v12, v27, v53
	v_pack_b32_f16 v13, v54, v29
	s_movk_i32 s4, 0x2780
	v_fma_f16 v14, v14, 2.0, -v77
	v_fma_f16 v18, v18, 2.0, -v94
	ds_write2_b32 v91, v12, v13 offset1:32
	v_pack_b32_f16 v12, v51, v16
	v_pack_b32_f16 v13, v52, v74
	v_and_or_b32 v5, v4, s4, v5
	ds_write2_b32 v91, v12, v13 offset0:64 offset1:96
	v_lshlrev_b32_e32 v92, 2, v5
	v_pack_b32_f16 v5, v14, v93
	v_pack_b32_f16 v12, v95, v18
	ds_write2_b32 v92, v5, v12 offset1:32
	v_pack_b32_f16 v5, v77, v28
	v_pack_b32_f16 v12, v76, v94
	ds_write2_b32 v92, v5, v12 offset0:64 offset1:96
	v_and_b32_e32 v5, 0x7f, v0
	v_mad_u64_u32 v[12:13], s[4:5], v5, 12, s[2:3]
	s_waitcnt lgkmcnt(0)
	s_barrier
	global_load_dwordx3 v[12:14], v[12:13], off offset:480
	ds_read2st64_b32 v[15:16], v57 offset1:8
	ds_read2st64_b32 v[17:18], v57 offset0:32 offset1:40
	ds_read2st64_b32 v[19:20], v57 offset0:64 offset1:80
	;; [unrolled: 1-line block ×8, first 2 shown]
	s_waitcnt lgkmcnt(7)
	v_lshrrev_b32_e32 v44, 16, v18
	s_waitcnt lgkmcnt(6)
	v_lshrrev_b32_e32 v45, 16, v20
	s_waitcnt lgkmcnt(5)
	v_lshrrev_b32_e32 v46, 16, v22
	s_waitcnt lgkmcnt(4)
	v_lshrrev_b32_e32 v48, 16, v23
	s_waitcnt lgkmcnt(3)
	v_lshrrev_b32_e32 v49, 16, v25
	s_waitcnt lgkmcnt(2)
	v_lshrrev_b32_e32 v50, 16, v27
	v_lshrrev_b32_e32 v52, 16, v24
	v_lshrrev_b32_e32 v53, 16, v26
	;; [unrolled: 1-line block ×3, first 2 shown]
	ds_read_b32 v74, v57 offset:36864
	ds_read_b32 v94, v57 offset:38912
	v_lshrrev_b32_e32 v77, 16, v19
	s_waitcnt lgkmcnt(2)
	v_lshrrev_b32_e32 v93, 16, v38
	v_lshrrev_b32_e32 v97, 16, v37
	s_waitcnt lgkmcnt(1)
	v_lshrrev_b32_e32 v95, 16, v74
	v_lshrrev_b32_e32 v99, 16, v21
	s_waitcnt lgkmcnt(0)
	v_lshrrev_b32_e32 v100, 16, v94
	v_lshrrev_b32_e32 v29, 16, v15
	v_lshrrev_b32_e32 v76, 16, v36
	v_lshrrev_b32_e32 v47, 16, v16
	s_movk_i32 s5, 0x600
	v_lshrrev_b32_e32 v96, 16, v17
	s_movk_i32 s4, 0xe00
	v_lshrrev_b32_e32 v51, 16, v35
	s_waitcnt vmcnt(0)
	s_barrier
	v_and_or_b32 v2, v2, s4, v5
	s_movk_i32 s4, 0x1600
	v_mul_f16_sdwa v101, v44, v12 dst_sel:DWORD dst_unused:UNUSED_PAD src0_sel:DWORD src1_sel:WORD_1
	v_fma_f16 v101, v18, v12, -v101
	v_mul_f16_sdwa v18, v18, v12 dst_sel:DWORD dst_unused:UNUSED_PAD src0_sel:DWORD src1_sel:WORD_1
	v_fma_f16 v18, v44, v12, v18
	v_mul_f16_sdwa v44, v45, v13 dst_sel:DWORD dst_unused:UNUSED_PAD src0_sel:DWORD src1_sel:WORD_1
	v_fma_f16 v44, v20, v13, -v44
	v_mul_f16_sdwa v20, v20, v13 dst_sel:DWORD dst_unused:UNUSED_PAD src0_sel:DWORD src1_sel:WORD_1
	v_fma_f16 v20, v45, v13, v20
	;; [unrolled: 4-line block ×15, first 2 shown]
	v_sub_f16_e32 v44, v15, v44
	v_sub_f16_e32 v20, v29, v20
	;; [unrolled: 1-line block ×6, first 2 shown]
	v_fma_f16 v15, v15, 2.0, -v44
	v_fma_f16 v29, v29, 2.0, -v20
	;; [unrolled: 1-line block ×5, first 2 shown]
	v_add_f16_e32 v101, v38, v93
	v_sub_f16_e32 v93, v17, v97
	v_sub_f16_e32 v94, v37, v94
	;; [unrolled: 1-line block ×5, first 2 shown]
	v_add_f16_e32 v45, v20, v45
	v_sub_f16_e32 v48, v16, v48
	v_sub_f16_e32 v25, v47, v25
	v_sub_f16_e32 v49, v46, v49
	v_sub_f16_e32 v27, v23, v27
	v_sub_f16_e32 v103, v93, v94
	v_fma_f16 v15, v15, 2.0, -v100
	v_fma_f16 v29, v29, 2.0, -v18
	;; [unrolled: 1-line block ×10, first 2 shown]
	v_and_or_b32 v93, v57, s5, v5
	v_sub_f16_e32 v46, v16, v46
	v_sub_f16_e32 v23, v47, v23
	;; [unrolled: 1-line block ×3, first 2 shown]
	v_add_f16_e32 v49, v25, v49
	v_lshlrev_b32_e32 v93, 2, v93
	v_pack_b32_f16 v15, v15, v29
	v_pack_b32_f16 v20, v44, v20
	v_fma_f16 v16, v16, 2.0, -v46
	v_fma_f16 v47, v47, 2.0, -v23
	;; [unrolled: 1-line block ×4, first 2 shown]
	v_sub_f16_e32 v52, v35, v52
	v_sub_f16_e32 v26, v51, v26
	;; [unrolled: 1-line block ×4, first 2 shown]
	ds_write2st64_b32 v93, v15, v20 offset1:2
	v_pack_b32_f16 v15, v100, v18
	v_pack_b32_f16 v18, v22, v45
	v_fma_f16 v35, v35, 2.0, -v52
	v_fma_f16 v51, v51, 2.0, -v26
	;; [unrolled: 1-line block ×5, first 2 shown]
	ds_write2st64_b32 v93, v15, v18 offset0:4 offset1:6
	v_lshlrev_b32_e32 v94, 2, v2
	v_pack_b32_f16 v2, v16, v47
	v_pack_b32_f16 v15, v48, v25
	v_sub_f16_e32 v50, v35, v50
	v_sub_f16_e32 v24, v51, v24
	v_sub_f16_e32 v28, v52, v28
	v_add_f16_e32 v53, v26, v53
	v_sub_f16_e32 v97, v95, v99
	ds_write2st64_b32 v94, v2, v15 offset1:2
	v_pack_b32_f16 v2, v46, v23
	v_pack_b32_f16 v15, v27, v49
	v_fma_f16 v35, v35, 2.0, -v50
	v_fma_f16 v51, v51, 2.0, -v24
	;; [unrolled: 1-line block ×4, first 2 shown]
	v_sub_f16_e32 v77, v36, v77
	v_sub_f16_e32 v74, v19, v74
	v_fma_f16 v95, v95, 2.0, -v97
	ds_write2st64_b32 v94, v2, v15 offset0:4 offset1:6
	v_and_or_b32 v2, v59, s4, v5
	v_fma_f16 v36, v36, 2.0, -v77
	v_fma_f16 v76, v76, 2.0, -v38
	;; [unrolled: 1-line block ×3, first 2 shown]
	v_sub_f16_e32 v21, v96, v21
	v_sub_f16_e32 v99, v17, v95
	v_lshlrev_b32_e32 v95, 2, v2
	v_pack_b32_f16 v2, v35, v51
	v_pack_b32_f16 v15, v52, v26
	v_sub_f16_e32 v54, v36, v54
	v_sub_f16_e32 v19, v76, v19
	v_sub_f16_e32 v74, v77, v74
	v_fma_f16 v96, v96, 2.0, -v21
	ds_write2st64_b32 v95, v2, v15 offset1:2
	v_pack_b32_f16 v2, v50, v24
	v_pack_b32_f16 v15, v28, v53
	s_movk_i32 s4, 0x1e00
	v_fma_f16 v36, v36, 2.0, -v54
	v_fma_f16 v76, v76, 2.0, -v19
	v_fma_f16 v77, v77, 2.0, -v74
	v_fma_f16 v38, v38, 2.0, -v101
	v_sub_f16_e32 v37, v96, v37
	ds_write2st64_b32 v95, v2, v15 offset0:4 offset1:6
	v_and_or_b32 v2, v3, s4, v5
	v_fma_f16 v102, v96, 2.0, -v37
	v_lshlrev_b32_e32 v96, 2, v2
	v_pack_b32_f16 v2, v36, v76
	v_pack_b32_f16 v3, v77, v38
	v_add_f16_e32 v104, v21, v97
	ds_write2st64_b32 v96, v2, v3 offset1:2
	v_pack_b32_f16 v2, v54, v19
	v_pack_b32_f16 v3, v74, v101
	s_movk_i32 s4, 0x2600
	v_fma_f16 v17, v17, 2.0, -v99
	v_fma_f16 v21, v21, 2.0, -v104
	ds_write2st64_b32 v96, v2, v3 offset0:4 offset1:6
	v_and_or_b32 v2, v4, s4, v5
	v_lshlrev_b32_e32 v97, 2, v2
	v_pack_b32_f16 v2, v17, v102
	v_pack_b32_f16 v3, v105, v21
	ds_write2st64_b32 v97, v2, v3 offset1:2
	v_pack_b32_f16 v2, v99, v37
	v_pack_b32_f16 v3, v103, v104
	v_lshlrev_b32_e32 v17, 4, v0
	ds_write2st64_b32 v97, v2, v3 offset0:4 offset1:6
	s_waitcnt lgkmcnt(0)
	s_barrier
	global_load_dwordx4 v[2:5], v17, s[2:3] offset:2016
	ds_read2st64_b32 v[20:21], v57 offset1:8
	ds_read2st64_b32 v[22:23], v57 offset0:32 offset1:40
	ds_read2st64_b32 v[24:25], v57 offset0:64 offset1:80
	;; [unrolled: 1-line block ×6, first 2 shown]
	s_waitcnt lgkmcnt(5)
	v_lshrrev_b32_e32 v47, 16, v22
	s_waitcnt lgkmcnt(4)
	v_lshrrev_b32_e32 v48, 16, v24
	;; [unrolled: 2-line block ×4, first 2 shown]
	v_lshrrev_b32_e32 v52, 16, v23
	s_waitcnt lgkmcnt(1)
	v_lshrrev_b32_e32 v53, 16, v35
	v_lshrrev_b32_e32 v54, 16, v36
	;; [unrolled: 1-line block ×3, first 2 shown]
	ds_read2st64_b32 v[44:45], v57 offset0:112 offset1:120
	s_waitcnt lgkmcnt(1)
	v_lshrrev_b32_e32 v99, 16, v37
	ds_read_b32 v77, v57 offset:36864
	ds_read_b32 v102, v57 offset:38912
	v_lshrrev_b32_e32 v100, 16, v25
	s_waitcnt lgkmcnt(2)
	v_lshrrev_b32_e32 v101, 16, v44
	v_lshrrev_b32_e32 v104, 16, v38
	s_waitcnt lgkmcnt(1)
	v_lshrrev_b32_e32 v103, 16, v77
	v_lshrrev_b32_e32 v105, 16, v26
	;; [unrolled: 1-line block ×3, first 2 shown]
	s_waitcnt lgkmcnt(0)
	v_lshrrev_b32_e32 v107, 16, v102
	v_mov_b32_e32 v18, s3
	s_movk_i32 s3, 0x3b9c
	v_add_co_u32_e32 v17, vcc, s2, v17
	s_movk_i32 s2, 0x38b4
	s_movk_i32 s5, 0x34f2
	v_lshrrev_b32_e32 v46, 16, v20
	v_lshrrev_b32_e32 v51, 16, v21
	ds_read2st64_b32 v[15:16], v57 offset0:16 offset1:24
	s_waitcnt vmcnt(0) lgkmcnt(0)
	s_barrier
	v_addc_co_u32_e32 v18, vcc, 0, v18, vcc
	v_lshrrev_b32_e32 v76, 16, v15
	v_lshrrev_b32_e32 v19, 16, v16
	s_movk_i32 s4, 0x2000
	v_mul_f16_sdwa v108, v47, v2 dst_sel:DWORD dst_unused:UNUSED_PAD src0_sel:DWORD src1_sel:WORD_1
	v_fma_f16 v108, v22, v2, -v108
	v_mul_f16_sdwa v22, v22, v2 dst_sel:DWORD dst_unused:UNUSED_PAD src0_sel:DWORD src1_sel:WORD_1
	v_fma_f16 v22, v47, v2, v22
	v_mul_f16_sdwa v47, v48, v3 dst_sel:DWORD dst_unused:UNUSED_PAD src0_sel:DWORD src1_sel:WORD_1
	v_fma_f16 v47, v24, v3, -v47
	v_mul_f16_sdwa v24, v24, v3 dst_sel:DWORD dst_unused:UNUSED_PAD src0_sel:DWORD src1_sel:WORD_1
	v_fma_f16 v24, v48, v3, v24
	v_mul_f16_sdwa v48, v49, v4 dst_sel:DWORD dst_unused:UNUSED_PAD src0_sel:DWORD src1_sel:WORD_1
	v_fma_f16 v48, v27, v4, -v48
	v_mul_f16_sdwa v27, v27, v4 dst_sel:DWORD dst_unused:UNUSED_PAD src0_sel:DWORD src1_sel:WORD_1
	v_fma_f16 v27, v49, v4, v27
	v_mul_f16_sdwa v49, v50, v5 dst_sel:DWORD dst_unused:UNUSED_PAD src0_sel:DWORD src1_sel:WORD_1
	v_fma_f16 v49, v28, v5, -v49
	v_mul_f16_sdwa v28, v28, v5 dst_sel:DWORD dst_unused:UNUSED_PAD src0_sel:DWORD src1_sel:WORD_1
	v_fma_f16 v28, v50, v5, v28
	v_mul_f16_sdwa v50, v52, v2 dst_sel:DWORD dst_unused:UNUSED_PAD src0_sel:DWORD src1_sel:WORD_1
	v_fma_f16 v50, v23, v2, -v50
	v_mul_f16_sdwa v23, v23, v2 dst_sel:DWORD dst_unused:UNUSED_PAD src0_sel:DWORD src1_sel:WORD_1
	v_fma_f16 v23, v52, v2, v23
	v_mul_f16_sdwa v52, v53, v3 dst_sel:DWORD dst_unused:UNUSED_PAD src0_sel:DWORD src1_sel:WORD_1
	v_fma_f16 v52, v35, v3, -v52
	v_mul_f16_sdwa v35, v35, v3 dst_sel:DWORD dst_unused:UNUSED_PAD src0_sel:DWORD src1_sel:WORD_1
	v_fma_f16 v35, v53, v3, v35
	v_mul_f16_sdwa v53, v54, v4 dst_sel:DWORD dst_unused:UNUSED_PAD src0_sel:DWORD src1_sel:WORD_1
	v_fma_f16 v53, v36, v4, -v53
	v_mul_f16_sdwa v36, v36, v4 dst_sel:DWORD dst_unused:UNUSED_PAD src0_sel:DWORD src1_sel:WORD_1
	v_fma_f16 v36, v54, v4, v36
	v_mul_f16_sdwa v54, v74, v5 dst_sel:DWORD dst_unused:UNUSED_PAD src0_sel:DWORD src1_sel:WORD_1
	v_fma_f16 v54, v29, v5, -v54
	v_mul_f16_sdwa v29, v29, v5 dst_sel:DWORD dst_unused:UNUSED_PAD src0_sel:DWORD src1_sel:WORD_1
	v_fma_f16 v29, v74, v5, v29
	v_mul_f16_sdwa v74, v99, v2 dst_sel:DWORD dst_unused:UNUSED_PAD src0_sel:DWORD src1_sel:WORD_1
	v_fma_f16 v74, v37, v2, -v74
	v_mul_f16_sdwa v37, v37, v2 dst_sel:DWORD dst_unused:UNUSED_PAD src0_sel:DWORD src1_sel:WORD_1
	v_fma_f16 v37, v99, v2, v37
	v_mul_f16_sdwa v99, v100, v3 dst_sel:DWORD dst_unused:UNUSED_PAD src0_sel:DWORD src1_sel:WORD_1
	v_fma_f16 v99, v25, v3, -v99
	v_mul_f16_sdwa v25, v25, v3 dst_sel:DWORD dst_unused:UNUSED_PAD src0_sel:DWORD src1_sel:WORD_1
	v_fma_f16 v25, v100, v3, v25
	v_mul_f16_sdwa v100, v101, v4 dst_sel:DWORD dst_unused:UNUSED_PAD src0_sel:DWORD src1_sel:WORD_1
	v_fma_f16 v100, v44, v4, -v100
	v_mul_f16_sdwa v44, v44, v4 dst_sel:DWORD dst_unused:UNUSED_PAD src0_sel:DWORD src1_sel:WORD_1
	v_fma_f16 v44, v101, v4, v44
	v_mul_f16_sdwa v101, v103, v5 dst_sel:DWORD dst_unused:UNUSED_PAD src0_sel:DWORD src1_sel:WORD_1
	v_fma_f16 v101, v77, v5, -v101
	v_mul_f16_sdwa v77, v77, v5 dst_sel:DWORD dst_unused:UNUSED_PAD src0_sel:DWORD src1_sel:WORD_1
	v_fma_f16 v77, v103, v5, v77
	v_mul_f16_sdwa v103, v104, v2 dst_sel:DWORD dst_unused:UNUSED_PAD src0_sel:DWORD src1_sel:WORD_1
	v_fma_f16 v103, v38, v2, -v103
	v_mul_f16_sdwa v38, v38, v2 dst_sel:DWORD dst_unused:UNUSED_PAD src0_sel:DWORD src1_sel:WORD_1
	v_fma_f16 v38, v104, v2, v38
	v_mul_f16_sdwa v104, v105, v3 dst_sel:DWORD dst_unused:UNUSED_PAD src0_sel:DWORD src1_sel:WORD_1
	v_fma_f16 v104, v26, v3, -v104
	v_mul_f16_sdwa v26, v26, v3 dst_sel:DWORD dst_unused:UNUSED_PAD src0_sel:DWORD src1_sel:WORD_1
	v_fma_f16 v26, v105, v3, v26
	v_mul_f16_sdwa v105, v106, v4 dst_sel:DWORD dst_unused:UNUSED_PAD src0_sel:DWORD src1_sel:WORD_1
	v_add_f16_e32 v109, v47, v48
	v_fma_f16 v105, v45, v4, -v105
	v_mul_f16_sdwa v45, v45, v4 dst_sel:DWORD dst_unused:UNUSED_PAD src0_sel:DWORD src1_sel:WORD_1
	v_fma_f16 v109, v109, -0.5, v20
	v_sub_f16_e32 v110, v22, v28
	v_fma_f16 v45, v106, v4, v45
	v_mul_f16_sdwa v106, v107, v5 dst_sel:DWORD dst_unused:UNUSED_PAD src0_sel:DWORD src1_sel:WORD_1
	v_fma_f16 v111, v110, s3, v109
	v_sub_f16_e32 v112, v24, v27
	v_sub_f16_e32 v113, v108, v47
	;; [unrolled: 1-line block ×3, first 2 shown]
	v_fma_f16 v109, v110, s15, v109
	v_fma_f16 v106, v102, v5, -v106
	v_mul_f16_sdwa v102, v102, v5 dst_sel:DWORD dst_unused:UNUSED_PAD src0_sel:DWORD src1_sel:WORD_1
	v_fma_f16 v111, v112, s2, v111
	v_add_f16_e32 v113, v113, v114
	v_fma_f16 v109, v112, s16, v109
	v_fma_f16 v102, v107, v5, v102
	v_add_f16_e32 v107, v20, v108
	v_fma_f16 v111, v113, s5, v111
	v_fma_f16 v109, v113, s5, v109
	v_add_f16_e32 v113, v108, v49
	v_add_f16_e32 v107, v107, v47
	v_fma_f16 v20, v113, -0.5, v20
	v_add_f16_e32 v107, v107, v48
	v_fma_f16 v113, v112, s15, v20
	v_fma_f16 v20, v112, s3, v20
	v_add_f16_e32 v112, v24, v27
	v_add_f16_e32 v107, v107, v49
	v_sub_f16_e32 v114, v47, v108
	v_sub_f16_e32 v115, v48, v49
	v_fma_f16 v112, v112, -0.5, v46
	v_sub_f16_e32 v49, v108, v49
	v_fma_f16 v113, v110, s2, v113
	v_add_f16_e32 v114, v114, v115
	v_fma_f16 v20, v110, s16, v20
	v_fma_f16 v108, v49, s15, v112
	v_sub_f16_e32 v47, v47, v48
	v_fma_f16 v113, v114, s5, v113
	v_fma_f16 v20, v114, s5, v20
	;; [unrolled: 1-line block ×3, first 2 shown]
	v_sub_f16_e32 v108, v22, v24
	v_sub_f16_e32 v114, v28, v27
	v_fma_f16 v112, v49, s3, v112
	v_add_f16_e32 v110, v46, v22
	v_add_f16_e32 v108, v108, v114
	v_fma_f16 v112, v47, s2, v112
	v_add_f16_e32 v110, v110, v24
	v_fma_f16 v48, v108, s5, v48
	v_fma_f16 v108, v108, s5, v112
	v_add_f16_e32 v112, v22, v28
	v_add_f16_e32 v110, v110, v27
	v_fma_f16 v46, v112, -0.5, v46
	v_add_f16_e32 v110, v110, v28
	v_fma_f16 v112, v47, s3, v46
	v_sub_f16_e32 v22, v24, v22
	v_sub_f16_e32 v24, v27, v28
	v_add_f16_e32 v28, v52, v53
	v_fma_f16 v112, v49, s16, v112
	v_add_f16_e32 v22, v22, v24
	v_fma_f16 v27, v47, s15, v46
	v_fma_f16 v28, v28, -0.5, v21
	v_sub_f16_e32 v46, v23, v29
	v_fma_f16 v24, v22, s5, v112
	v_fma_f16 v27, v49, s2, v27
	;; [unrolled: 1-line block ×3, first 2 shown]
	v_sub_f16_e32 v49, v35, v36
	v_sub_f16_e32 v112, v50, v52
	;; [unrolled: 1-line block ×3, first 2 shown]
	v_fma_f16 v28, v46, s15, v28
	v_fma_f16 v47, v49, s2, v47
	v_add_f16_e32 v112, v112, v114
	v_fma_f16 v28, v49, s16, v28
	v_fma_f16 v47, v112, s5, v47
	;; [unrolled: 1-line block ×3, first 2 shown]
	v_add_f16_e32 v112, v50, v54
	v_fma_f16 v22, v22, s5, v27
	v_add_f16_e32 v27, v21, v50
	v_fma_f16 v21, v112, -0.5, v21
	v_add_f16_e32 v27, v27, v52
	v_fma_f16 v112, v49, s15, v21
	v_fma_f16 v21, v49, s3, v21
	v_add_f16_e32 v49, v35, v36
	v_add_f16_e32 v27, v27, v53
	v_sub_f16_e32 v114, v52, v50
	v_sub_f16_e32 v115, v53, v54
	v_fma_f16 v49, v49, -0.5, v51
	v_sub_f16_e32 v50, v50, v54
	v_add_f16_e32 v27, v27, v54
	v_fma_f16 v112, v46, s2, v112
	v_add_f16_e32 v114, v114, v115
	v_fma_f16 v21, v46, s16, v21
	v_fma_f16 v54, v50, s15, v49
	v_sub_f16_e32 v52, v52, v53
	v_fma_f16 v112, v114, s5, v112
	v_fma_f16 v21, v114, s5, v21
	;; [unrolled: 1-line block ×3, first 2 shown]
	v_sub_f16_e32 v54, v23, v35
	v_sub_f16_e32 v114, v29, v36
	v_fma_f16 v49, v50, s3, v49
	v_add_f16_e32 v46, v51, v23
	v_add_f16_e32 v54, v54, v114
	v_fma_f16 v49, v52, s2, v49
	v_add_f16_e32 v46, v46, v35
	v_fma_f16 v53, v54, s5, v53
	v_fma_f16 v49, v54, s5, v49
	v_add_f16_e32 v54, v23, v29
	v_add_f16_e32 v46, v46, v36
	v_fma_f16 v51, v54, -0.5, v51
	v_add_f16_e32 v46, v46, v29
	v_fma_f16 v54, v52, s3, v51
	v_sub_f16_e32 v23, v35, v23
	v_sub_f16_e32 v29, v36, v29
	v_fma_f16 v35, v52, s15, v51
	v_add_f16_e32 v36, v99, v100
	v_fma_f16 v54, v50, s16, v54
	v_add_f16_e32 v23, v23, v29
	v_fma_f16 v35, v50, s2, v35
	v_fma_f16 v36, v36, -0.5, v15
	v_sub_f16_e32 v50, v37, v77
	v_fma_f16 v29, v23, s5, v54
	v_fma_f16 v51, v50, s3, v36
	v_sub_f16_e32 v52, v25, v44
	v_sub_f16_e32 v54, v74, v99
	;; [unrolled: 1-line block ×3, first 2 shown]
	v_fma_f16 v36, v50, s15, v36
	v_fma_f16 v51, v52, s2, v51
	v_add_f16_e32 v54, v54, v114
	v_fma_f16 v36, v52, s16, v36
	v_fma_f16 v51, v54, s5, v51
	;; [unrolled: 1-line block ×3, first 2 shown]
	v_add_f16_e32 v54, v74, v101
	v_fma_f16 v23, v23, s5, v35
	v_add_f16_e32 v35, v15, v74
	v_fma_f16 v15, v54, -0.5, v15
	v_add_f16_e32 v35, v35, v99
	v_fma_f16 v54, v52, s15, v15
	v_fma_f16 v15, v52, s3, v15
	v_add_f16_e32 v52, v25, v44
	v_add_f16_e32 v35, v35, v100
	v_sub_f16_e32 v114, v99, v74
	v_sub_f16_e32 v115, v100, v101
	v_fma_f16 v52, v52, -0.5, v76
	v_sub_f16_e32 v74, v74, v101
	v_add_f16_e32 v35, v35, v101
	v_fma_f16 v54, v50, s2, v54
	v_add_f16_e32 v114, v114, v115
	v_fma_f16 v15, v50, s16, v15
	v_fma_f16 v101, v74, s15, v52
	v_sub_f16_e32 v99, v99, v100
	v_fma_f16 v54, v114, s5, v54
	v_fma_f16 v15, v114, s5, v15
	;; [unrolled: 1-line block ×3, first 2 shown]
	v_sub_f16_e32 v101, v37, v25
	v_sub_f16_e32 v114, v77, v44
	v_fma_f16 v52, v74, s3, v52
	v_add_f16_e32 v101, v101, v114
	v_fma_f16 v52, v99, s2, v52
	v_add_f16_e32 v50, v76, v37
	v_fma_f16 v100, v101, s5, v100
	v_fma_f16 v52, v101, s5, v52
	v_add_f16_e32 v101, v37, v77
	v_add_f16_e32 v50, v50, v25
	v_fma_f16 v76, v101, -0.5, v76
	v_add_f16_e32 v50, v50, v44
	v_fma_f16 v101, v99, s3, v76
	v_sub_f16_e32 v25, v25, v37
	v_sub_f16_e32 v37, v44, v77
	v_fma_f16 v44, v99, s15, v76
	v_fma_f16 v101, v74, s16, v101
	v_fma_f16 v44, v74, s2, v44
	v_add_f16_e32 v74, v104, v105
	v_add_f16_e32 v25, v25, v37
	v_fma_f16 v74, v74, -0.5, v16
	v_sub_f16_e32 v76, v38, v102
	v_add_f16_e32 v50, v50, v77
	v_fma_f16 v37, v25, s5, v101
	v_fma_f16 v77, v76, s3, v74
	v_sub_f16_e32 v99, v26, v45
	v_sub_f16_e32 v101, v103, v104
	;; [unrolled: 1-line block ×3, first 2 shown]
	v_fma_f16 v74, v76, s15, v74
	v_fma_f16 v77, v99, s2, v77
	v_add_f16_e32 v101, v101, v114
	v_fma_f16 v74, v99, s16, v74
	v_fma_f16 v77, v101, s5, v77
	;; [unrolled: 1-line block ×3, first 2 shown]
	v_add_f16_e32 v101, v103, v106
	v_fma_f16 v25, v25, s5, v44
	v_add_f16_e32 v44, v16, v103
	v_fma_f16 v16, v101, -0.5, v16
	v_add_f16_e32 v44, v44, v104
	v_fma_f16 v101, v99, s15, v16
	v_fma_f16 v16, v99, s3, v16
	v_add_f16_e32 v99, v26, v45
	v_add_f16_e32 v44, v44, v105
	v_sub_f16_e32 v114, v104, v103
	v_sub_f16_e32 v115, v105, v106
	v_fma_f16 v99, v99, -0.5, v19
	v_sub_f16_e32 v103, v103, v106
	v_add_f16_e32 v44, v44, v106
	v_fma_f16 v101, v76, s2, v101
	v_add_f16_e32 v114, v114, v115
	v_fma_f16 v16, v76, s16, v16
	v_fma_f16 v106, v103, s15, v99
	v_sub_f16_e32 v104, v104, v105
	v_fma_f16 v101, v114, s5, v101
	v_fma_f16 v16, v114, s5, v16
	;; [unrolled: 1-line block ×3, first 2 shown]
	v_sub_f16_e32 v106, v38, v26
	v_sub_f16_e32 v114, v102, v45
	v_fma_f16 v99, v103, s3, v99
	v_add_f16_e32 v106, v106, v114
	v_fma_f16 v99, v104, s2, v99
	v_pack_b32_f16 v24, v113, v24
	v_pack_b32_f16 v20, v20, v22
	v_add_f16_e32 v76, v19, v38
	v_fma_f16 v105, v106, s5, v105
	v_fma_f16 v99, v106, s5, v99
	v_add_f16_e32 v106, v38, v102
	ds_write2st64_b32 v57, v24, v20 offset0:16 offset1:24
	v_pack_b32_f16 v20, v109, v108
	v_pack_b32_f16 v22, v27, v46
	v_add_f16_e32 v76, v76, v26
	v_fma_f16 v19, v106, -0.5, v19
	ds_write2st64_b32 v57, v20, v22 offset0:32 offset1:40
	v_pack_b32_f16 v20, v47, v53
	v_pack_b32_f16 v22, v112, v29
	v_add_f16_e32 v76, v76, v45
	v_fma_f16 v106, v104, s3, v19
	v_sub_f16_e32 v26, v26, v38
	v_sub_f16_e32 v38, v45, v102
	ds_write2st64_b32 v57, v20, v22 offset0:48 offset1:56
	v_pack_b32_f16 v20, v21, v23
	v_pack_b32_f16 v22, v35, v50
	v_add_f16_e32 v76, v76, v102
	v_fma_f16 v106, v103, s16, v106
	v_add_f16_e32 v26, v26, v38
	v_fma_f16 v19, v104, s15, v19
	v_pack_b32_f16 v21, v28, v49
	ds_write2st64_b32 v57, v20, v22 offset0:64 offset1:80
	v_pack_b32_f16 v20, v51, v100
	v_pack_b32_f16 v22, v54, v37
	;; [unrolled: 1-line block ×3, first 2 shown]
	v_fma_f16 v38, v26, s5, v106
	v_fma_f16 v19, v103, s2, v19
	ds_write2st64_b32 v57, v20, v22 offset0:88 offset1:96
	ds_write2st64_b32 v57, v21, v15 offset0:72 offset1:104
	v_pack_b32_f16 v15, v36, v52
	v_pack_b32_f16 v20, v44, v76
	v_fma_f16 v19, v26, s5, v19
	ds_write2st64_b32 v57, v15, v20 offset0:112 offset1:120
	v_pack_b32_f16 v15, v77, v105
	v_pack_b32_f16 v20, v101, v38
	ds_write2st64_b32 v57, v15, v20 offset0:128 offset1:136
	v_pack_b32_f16 v15, v16, v19
	v_sub_co_u32_e32 v27, vcc, v17, v57
	ds_write_b32 v57, v15 offset:36864
	v_pack_b32_f16 v15, v74, v99
	v_subbrev_co_u32_e32 v28, vcc, 0, v18, vcc
	ds_write_b32 v57, v15 offset:38912
	v_add_co_u32_e32 v15, vcc, s4, v27
	v_pack_b32_f16 v26, v107, v110
	v_pack_b32_f16 v45, v111, v48
	v_addc_co_u32_e32 v16, vcc, 0, v28, vcc
	ds_write2st64_b32 v57, v26, v45 offset1:8
	s_waitcnt lgkmcnt(0)
	s_barrier
	global_load_dwordx3 v[15:17], v[15:16], off offset:2016
	s_movk_i32 s4, 0x3000
	v_add_co_u32_e32 v18, vcc, s4, v27
	v_addc_co_u32_e32 v19, vcc, 0, v28, vcc
	global_load_dwordx3 v[18:20], v[18:19], off offset:4064
	s_movk_i32 s2, 0x5000
	v_add_co_u32_e32 v21, vcc, s2, v27
	v_addc_co_u32_e32 v22, vcc, 0, v28, vcc
	;; [unrolled: 4-line block ×3, first 2 shown]
	global_load_dwordx3 v[24:26], v[24:25], off offset:4064
	s_mov_b32 s5, 0x8000
	v_add_co_u32_e32 v27, vcc, s5, v27
	v_addc_co_u32_e32 v28, vcc, 0, v28, vcc
	global_load_dwordx3 v[27:29], v[27:28], off offset:2016
	ds_read2st64_b32 v[35:36], v57 offset1:8
	ds_read2st64_b32 v[37:38], v57 offset0:32 offset1:40
	ds_read2st64_b32 v[44:45], v57 offset0:64 offset1:80
	;; [unrolled: 1-line block ×8, first 2 shown]
	s_waitcnt lgkmcnt(7)
	v_lshrrev_b32_e32 v74, 16, v38
	s_waitcnt lgkmcnt(6)
	v_lshrrev_b32_e32 v101, 16, v45
	;; [unrolled: 2-line block ×6, first 2 shown]
	v_lshrrev_b32_e32 v108, 16, v49
	v_lshrrev_b32_e32 v109, 16, v51
	;; [unrolled: 1-line block ×3, first 2 shown]
	ds_read_b32 v111, v57 offset:36864
	ds_read_b32 v115, v57 offset:38912
	v_lshrrev_b32_e32 v113, 16, v44
	s_waitcnt lgkmcnt(2)
	v_lshrrev_b32_e32 v114, 16, v100
	v_lshrrev_b32_e32 v118, 16, v99
	s_waitcnt lgkmcnt(1)
	v_lshrrev_b32_e32 v116, 16, v111
	;; [unrolled: 3-line block ×3, first 2 shown]
	v_lshrrev_b32_e32 v54, 16, v35
	v_lshrrev_b32_e32 v103, 16, v36
	;; [unrolled: 1-line block ×5, first 2 shown]
	s_add_u32 s2, s6, 0xa000
	s_addc_u32 s3, s7, 0
	s_movk_i32 s16, 0x1000
	s_waitcnt vmcnt(4)
	v_mul_f16_sdwa v121, v74, v15 dst_sel:DWORD dst_unused:UNUSED_PAD src0_sel:DWORD src1_sel:WORD_1
	v_fma_f16 v121, v38, v15, -v121
	v_mul_f16_sdwa v38, v38, v15 dst_sel:DWORD dst_unused:UNUSED_PAD src0_sel:DWORD src1_sel:WORD_1
	v_fma_f16 v38, v74, v15, v38
	v_mul_f16_sdwa v74, v101, v16 dst_sel:DWORD dst_unused:UNUSED_PAD src0_sel:DWORD src1_sel:WORD_1
	v_fma_f16 v74, v45, v16, -v74
	v_mul_f16_sdwa v45, v45, v16 dst_sel:DWORD dst_unused:UNUSED_PAD src0_sel:DWORD src1_sel:WORD_1
	v_fma_f16 v45, v101, v16, v45
	v_mul_f16_sdwa v101, v102, v17 dst_sel:DWORD dst_unused:UNUSED_PAD src0_sel:DWORD src1_sel:WORD_1
	v_fma_f16 v101, v47, v17, -v101
	v_mul_f16_sdwa v47, v47, v17 dst_sel:DWORD dst_unused:UNUSED_PAD src0_sel:DWORD src1_sel:WORD_1
	v_fma_f16 v47, v102, v17, v47
	s_waitcnt vmcnt(3)
	v_mul_f16_sdwa v102, v104, v18 dst_sel:DWORD dst_unused:UNUSED_PAD src0_sel:DWORD src1_sel:WORD_1
	v_fma_f16 v102, v48, v18, -v102
	v_mul_f16_sdwa v48, v48, v18 dst_sel:DWORD dst_unused:UNUSED_PAD src0_sel:DWORD src1_sel:WORD_1
	v_fma_f16 v48, v104, v18, v48
	v_mul_f16_sdwa v104, v105, v19 dst_sel:DWORD dst_unused:UNUSED_PAD src0_sel:DWORD src1_sel:WORD_1
	v_fma_f16 v104, v50, v19, -v104
	v_mul_f16_sdwa v50, v50, v19 dst_sel:DWORD dst_unused:UNUSED_PAD src0_sel:DWORD src1_sel:WORD_1
	v_fma_f16 v50, v105, v19, v50
	v_mul_f16_sdwa v105, v106, v20 dst_sel:DWORD dst_unused:UNUSED_PAD src0_sel:DWORD src1_sel:WORD_1
	v_fma_f16 v105, v52, v20, -v105
	v_mul_f16_sdwa v52, v52, v20 dst_sel:DWORD dst_unused:UNUSED_PAD src0_sel:DWORD src1_sel:WORD_1
	v_fma_f16 v52, v106, v20, v52
	;; [unrolled: 13-line block ×4, first 2 shown]
	s_waitcnt vmcnt(0)
	v_mul_f16_sdwa v116, v118, v27 dst_sel:DWORD dst_unused:UNUSED_PAD src0_sel:DWORD src1_sel:WORD_1
	v_fma_f16 v116, v99, v27, -v116
	v_mul_f16_sdwa v99, v99, v27 dst_sel:DWORD dst_unused:UNUSED_PAD src0_sel:DWORD src1_sel:WORD_1
	v_fma_f16 v99, v118, v27, v99
	v_mul_f16_sdwa v118, v119, v28 dst_sel:DWORD dst_unused:UNUSED_PAD src0_sel:DWORD src1_sel:WORD_1
	v_fma_f16 v118, v46, v28, -v118
	v_mul_f16_sdwa v46, v46, v28 dst_sel:DWORD dst_unused:UNUSED_PAD src0_sel:DWORD src1_sel:WORD_1
	v_fma_f16 v46, v119, v28, v46
	v_mul_f16_sdwa v119, v120, v29 dst_sel:DWORD dst_unused:UNUSED_PAD src0_sel:DWORD src1_sel:WORD_1
	v_fma_f16 v119, v115, v29, -v119
	v_mul_f16_sdwa v115, v115, v29 dst_sel:DWORD dst_unused:UNUSED_PAD src0_sel:DWORD src1_sel:WORD_1
	v_sub_f16_e32 v74, v35, v74
	v_sub_f16_e32 v101, v121, v101
	v_fma_f16 v115, v120, v29, v115
	v_fma_f16 v35, v35, 2.0, -v74
	v_fma_f16 v120, v121, 2.0, -v101
	v_sub_f16_e32 v45, v54, v45
	v_sub_f16_e32 v47, v38, v47
	;; [unrolled: 1-line block ×3, first 2 shown]
	v_fma_f16 v54, v54, 2.0, -v45
	v_fma_f16 v38, v38, 2.0, -v47
	;; [unrolled: 1-line block ×3, first 2 shown]
	v_add_f16_e32 v123, v45, v101
	v_sub_f16_e32 v35, v36, v104
	v_sub_f16_e32 v101, v102, v105
	;; [unrolled: 1-line block ×5, first 2 shown]
	v_fma_f16 v36, v36, 2.0, -v35
	v_fma_f16 v102, v102, 2.0, -v101
	;; [unrolled: 1-line block ×3, first 2 shown]
	v_sub_f16_e32 v52, v35, v52
	v_sub_f16_e32 v104, v36, v102
	v_add_f16_e32 v124, v38, v101
	v_fma_f16 v125, v35, 2.0, -v52
	v_sub_f16_e32 v35, v76, v108
	v_fma_f16 v50, v103, 2.0, -v38
	v_fma_f16 v105, v36, 2.0, -v104
	v_fma_f16 v126, v38, 2.0, -v124
	v_sub_f16_e32 v36, v107, v51
	v_fma_f16 v38, v76, 2.0, -v35
	v_sub_f16_e32 v76, v106, v109
	v_sub_f16_e32 v53, v49, v53
	v_fma_f16 v101, v106, 2.0, -v76
	v_fma_f16 v49, v49, 2.0, -v53
	v_sub_f16_e32 v53, v35, v53
	v_add_f16_e32 v76, v36, v76
	v_fma_f16 v51, v107, 2.0, -v36
	v_sub_f16_e32 v106, v38, v101
	v_fma_f16 v108, v35, 2.0, -v53
	v_fma_f16 v109, v36, 2.0, -v76
	v_sub_f16_e32 v35, v77, v113
	v_sub_f16_e32 v36, v112, v100
	;; [unrolled: 1-line block ×3, first 2 shown]
	v_fma_f16 v107, v38, 2.0, -v106
	v_fma_f16 v38, v77, 2.0, -v35
	;; [unrolled: 1-line block ×3, first 2 shown]
	v_sub_f16_e32 v101, v44, v111
	v_sub_f16_e32 v110, v38, v102
	v_add_f16_e32 v113, v36, v100
	v_sub_f16_e32 v46, v117, v46
	v_sub_f16_e32 v103, v99, v115
	;; [unrolled: 1-line block ×3, first 2 shown]
	v_fma_f16 v77, v112, 2.0, -v36
	v_fma_f16 v111, v38, 2.0, -v110
	v_sub_f16_e32 v112, v35, v101
	v_fma_f16 v127, v36, 2.0, -v113
	v_sub_f16_e32 v36, v37, v118
	;; [unrolled: 2-line block ×3, first 2 shown]
	v_fma_f16 v99, v99, 2.0, -v103
	v_fma_f16 v54, v54, 2.0, -v121
	v_fma_f16 v50, v50, 2.0, -v48
	v_fma_f16 v114, v35, 2.0, -v112
	v_fma_f16 v35, v37, 2.0, -v36
	v_fma_f16 v37, v116, 2.0, -v102
	v_sub_f16_e32 v100, v38, v99
	v_add_f16_e32 v102, v46, v102
	v_fma_f16 v44, v44, 2.0, -v101
	v_fma_f16 v101, v38, 2.0, -v100
	v_sub_f16_e32 v38, v36, v103
	v_fma_f16 v103, v46, 2.0, -v102
	v_pack_b32_f16 v46, v122, v54
	v_pack_b32_f16 v50, v105, v50
	v_sub_f16_e32 v49, v51, v49
	ds_write2st64_b32 v57, v46, v50 offset1:8
	v_pack_b32_f16 v46, v125, v126
	v_pack_b32_f16 v50, v52, v124
	;; [unrolled: 1-line block ×3, first 2 shown]
	v_sub_f16_e32 v44, v77, v44
	v_pack_b32_f16 v48, v104, v48
	ds_write2st64_b32 v57, v46, v52 offset0:48 offset1:56
	v_pack_b32_f16 v46, v106, v49
	v_fma_f16 v51, v51, 2.0, -v49
	v_fma_f16 v77, v77, 2.0, -v44
	ds_write2st64_b32 v57, v48, v46 offset0:88 offset1:96
	v_pack_b32_f16 v46, v53, v76
	v_pack_b32_f16 v51, v107, v51
	ds_write2st64_b32 v57, v50, v46 offset0:128 offset1:136
	v_pack_b32_f16 v46, v111, v77
	v_sub_f16_e32 v47, v74, v47
	v_sub_f16_e32 v37, v35, v37
	v_pack_b32_f16 v54, v120, v121
	ds_write2st64_b32 v57, v51, v46 offset0:16 offset1:24
	v_pack_b32_f16 v46, v114, v127
	v_fma_f16 v74, v74, 2.0, -v47
	v_fma_f16 v45, v45, 2.0, -v123
	;; [unrolled: 1-line block ×3, first 2 shown]
	ds_write2st64_b32 v57, v46, v54 offset0:64 offset1:80
	v_pack_b32_f16 v46, v112, v113
	v_fma_f16 v36, v36, 2.0, -v38
	v_pack_b32_f16 v45, v74, v45
	ds_write_b32 v57, v46 offset:36864
	v_pack_b32_f16 v46, v35, v101
	v_pack_b32_f16 v44, v110, v44
	ds_write2st64_b32 v57, v46, v45 offset0:32 offset1:40
	v_pack_b32_f16 v45, v36, v103
	v_pack_b32_f16 v47, v47, v123
	ds_write2st64_b32 v57, v45, v44 offset0:72 offset1:104
	v_pack_b32_f16 v44, v37, v100
	ds_write2st64_b32 v57, v44, v47 offset0:112 offset1:120
	v_pack_b32_f16 v44, v38, v102
	ds_write_b32 v57, v44 offset:38912
	s_waitcnt lgkmcnt(0)
	s_barrier
	v_mov_b32_e32 v44, s3
	global_load_dword v52, v57, s[2:3]
	v_add_co_u32_e32 v45, vcc, s2, v57
	v_addc_co_u32_e32 v44, vcc, 0, v44, vcc
	v_add_co_u32_e32 v46, vcc, s16, v45
	v_addc_co_u32_e32 v47, vcc, 0, v44, vcc
	global_load_dword v53, v[46:47], off offset:1024
	s_nop 0
	global_load_dword v31, v31, s[2:3]
	v_add_co_u32_e32 v48, vcc, s4, v45
	v_addc_co_u32_e32 v49, vcc, 0, v44, vcc
	global_load_dword v54, v[48:49], off offset:3072
	global_load_dword v74, v39, s[2:3]
	v_add_co_u32_e32 v48, vcc, s15, v45
	v_addc_co_u32_e32 v49, vcc, 0, v44, vcc
	global_load_dword v99, v[48:49], off offset:1024
	;; [unrolled: 4-line block ×3, first 2 shown]
	global_load_dword v108, v40, s[2:3]
	global_load_dword v109, v42, s[2:3]
	s_nop 0
	global_load_dword v43, v43, s[2:3]
	s_nop 0
	global_load_dword v110, v57, s[2:3] offset:2048
	v_add_co_u32_e32 v39, vcc, s14, v45
	v_addc_co_u32_e32 v40, vcc, 0, v44, vcc
	v_add_co_u32_e32 v41, vcc, 0x9000, v45
	v_addc_co_u32_e32 v42, vcc, 0, v44, vcc
	global_load_dword v111, v[39:40], off offset:1024
	global_load_dword v112, v[41:42], off offset:1024
	;; [unrolled: 1-line block ×4, first 2 shown]
	ds_read2st64_b32 v[39:40], v57 offset1:8
	ds_read2st64_b32 v[41:42], v57 offset0:20 offset1:28
	ds_read2st64_b32 v[76:77], v57 offset0:120 offset1:128
	;; [unrolled: 1-line block ×3, first 2 shown]
	v_or_b32_e32 v115, 0xe00, v0
	s_waitcnt lgkmcnt(3)
	v_lshrrev_b32_e32 v46, 16, v39
	s_waitcnt lgkmcnt(2)
	v_lshrrev_b32_e32 v48, 16, v41
	v_or_b32_e32 v116, 0x1800, v0
	v_or_b32_e32 v117, 0x2200, v0
	s_waitcnt vmcnt(15)
	v_mul_f16_sdwa v47, v46, v52 dst_sel:DWORD dst_unused:UNUSED_PAD src0_sel:DWORD src1_sel:WORD_1
	v_fma_f16 v47, v39, v52, -v47
	v_mul_f16_sdwa v39, v39, v52 dst_sel:DWORD dst_unused:UNUSED_PAD src0_sel:DWORD src1_sel:WORD_1
	v_fma_f16 v39, v46, v52, v39
	v_pack_b32_f16 v39, v47, v39
	ds_read2st64_b32 v[46:47], v57 offset0:40 offset1:48
	s_waitcnt vmcnt(14)
	v_mul_f16_sdwa v49, v48, v53 dst_sel:DWORD dst_unused:UNUSED_PAD src0_sel:DWORD src1_sel:WORD_1
	v_fma_f16 v49, v41, v53, -v49
	v_mul_f16_sdwa v41, v41, v53 dst_sel:DWORD dst_unused:UNUSED_PAD src0_sel:DWORD src1_sel:WORD_1
	v_fma_f16 v41, v48, v53, v41
	v_pack_b32_f16 v41, v49, v41
	ds_read2st64_b32 v[48:49], v57 offset0:60 offset1:68
	s_waitcnt lgkmcnt(1)
	v_lshrrev_b32_e32 v50, 16, v46
	s_waitcnt vmcnt(13)
	v_mul_f16_sdwa v51, v50, v31 dst_sel:DWORD dst_unused:UNUSED_PAD src0_sel:DWORD src1_sel:WORD_1
	v_fma_f16 v51, v46, v31, -v51
	v_mul_f16_sdwa v46, v46, v31 dst_sel:DWORD dst_unused:UNUSED_PAD src0_sel:DWORD src1_sel:WORD_1
	v_fma_f16 v31, v50, v31, v46
	s_waitcnt lgkmcnt(0)
	v_lshrrev_b32_e32 v46, 16, v48
	v_pack_b32_f16 v31, v51, v31
	s_waitcnt vmcnt(12)
	v_mul_f16_sdwa v52, v46, v54 dst_sel:DWORD dst_unused:UNUSED_PAD src0_sel:DWORD src1_sel:WORD_1
	ds_read2st64_b32 v[50:51], v57 offset0:80 offset1:88
	v_fma_f16 v52, v48, v54, -v52
	v_mul_f16_sdwa v48, v48, v54 dst_sel:DWORD dst_unused:UNUSED_PAD src0_sel:DWORD src1_sel:WORD_1
	v_fma_f16 v46, v46, v54, v48
	v_pack_b32_f16 v46, v52, v46
	ds_read2st64_b32 v[52:53], v57 offset0:100 offset1:108
	s_waitcnt lgkmcnt(1)
	v_lshrrev_b32_e32 v48, 16, v50
	s_waitcnt vmcnt(11)
	v_mul_f16_sdwa v54, v48, v74 dst_sel:DWORD dst_unused:UNUSED_PAD src0_sel:DWORD src1_sel:WORD_1
	v_fma_f16 v54, v50, v74, -v54
	v_mul_f16_sdwa v50, v50, v74 dst_sel:DWORD dst_unused:UNUSED_PAD src0_sel:DWORD src1_sel:WORD_1
	v_fma_f16 v48, v48, v74, v50
	s_waitcnt lgkmcnt(0)
	v_lshrrev_b32_e32 v50, 16, v52
	v_pack_b32_f16 v48, v54, v48
	s_waitcnt vmcnt(10)
	v_mul_f16_sdwa v54, v50, v99 dst_sel:DWORD dst_unused:UNUSED_PAD src0_sel:DWORD src1_sel:WORD_1
	v_fma_f16 v54, v52, v99, -v54
	v_mul_f16_sdwa v52, v52, v99 dst_sel:DWORD dst_unused:UNUSED_PAD src0_sel:DWORD src1_sel:WORD_1
	v_fma_f16 v50, v50, v99, v52
	v_lshrrev_b32_e32 v52, 16, v76
	v_pack_b32_f16 v50, v54, v50
	s_waitcnt vmcnt(9)
	v_mul_f16_sdwa v54, v52, v106 dst_sel:DWORD dst_unused:UNUSED_PAD src0_sel:DWORD src1_sel:WORD_1
	v_mul_f16_sdwa v74, v76, v106 dst_sel:DWORD dst_unused:UNUSED_PAD src0_sel:DWORD src1_sel:WORD_1
	v_fma_f16 v54, v76, v106, -v54
	v_fma_f16 v52, v52, v106, v74
	v_pack_b32_f16 v52, v54, v52
	v_lshrrev_b32_e32 v54, 16, v104
	s_waitcnt vmcnt(8)
	v_mul_f16_sdwa v74, v54, v107 dst_sel:DWORD dst_unused:UNUSED_PAD src0_sel:DWORD src1_sel:WORD_1
	v_mul_f16_sdwa v76, v104, v107 dst_sel:DWORD dst_unused:UNUSED_PAD src0_sel:DWORD src1_sel:WORD_1
	v_fma_f16 v74, v104, v107, -v74
	v_fma_f16 v54, v54, v107, v76
	v_pack_b32_f16 v54, v74, v54
	v_lshrrev_b32_e32 v74, 16, v40
	s_waitcnt vmcnt(4)
	v_mul_f16_sdwa v76, v74, v110 dst_sel:DWORD dst_unused:UNUSED_PAD src0_sel:DWORD src1_sel:WORD_1
	v_fma_f16 v76, v40, v110, -v76
	v_mul_f16_sdwa v40, v40, v110 dst_sel:DWORD dst_unused:UNUSED_PAD src0_sel:DWORD src1_sel:WORD_1
	v_fma_f16 v40, v74, v110, v40
	v_pack_b32_f16 v40, v76, v40
	ds_write2st64_b32 v57, v39, v40 offset1:8
	v_lshrrev_b32_e32 v39, 16, v42
	s_waitcnt vmcnt(0)
	v_mul_f16_sdwa v40, v39, v114 dst_sel:DWORD dst_unused:UNUSED_PAD src0_sel:DWORD src1_sel:WORD_1
	v_fma_f16 v40, v42, v114, -v40
	v_mul_f16_sdwa v42, v42, v114 dst_sel:DWORD dst_unused:UNUSED_PAD src0_sel:DWORD src1_sel:WORD_1
	v_fma_f16 v39, v39, v114, v42
	v_pack_b32_f16 v39, v40, v39
	ds_write2st64_b32 v57, v41, v39 offset0:20 offset1:28
	v_lshrrev_b32_e32 v39, 16, v47
	v_mul_f16_sdwa v40, v39, v108 dst_sel:DWORD dst_unused:UNUSED_PAD src0_sel:DWORD src1_sel:WORD_1
	v_mul_f16_sdwa v41, v47, v108 dst_sel:DWORD dst_unused:UNUSED_PAD src0_sel:DWORD src1_sel:WORD_1
	v_fma_f16 v40, v47, v108, -v40
	v_fma_f16 v39, v39, v108, v41
	v_pack_b32_f16 v39, v40, v39
	ds_write2st64_b32 v57, v31, v39 offset0:40 offset1:48
	v_lshrrev_b32_e32 v31, 16, v49
	v_mul_f16_sdwa v39, v31, v111 dst_sel:DWORD dst_unused:UNUSED_PAD src0_sel:DWORD src1_sel:WORD_1
	v_mul_f16_sdwa v40, v49, v111 dst_sel:DWORD dst_unused:UNUSED_PAD src0_sel:DWORD src1_sel:WORD_1
	v_fma_f16 v39, v49, v111, -v39
	;; [unrolled: 7-line block ×6, first 2 shown]
	v_fma_f16 v31, v31, v112, v40
	v_pack_b32_f16 v31, v39, v31
	v_lshlrev_b32_e32 v77, 2, v115
	v_lshlrev_b32_e32 v76, 2, v116
	;; [unrolled: 1-line block ×3, first 2 shown]
	ds_write2st64_b32 v57, v54, v31 offset0:140 offset1:148
	s_and_saveexec_b64 s[4:5], s[0:1]
	s_cbranch_execz .LBB0_9
; %bb.8:
	v_add_co_u32_e32 v39, vcc, 0x2000, v45
	global_load_dword v31, v59, s[2:3]
	global_load_dword v47, v77, s[2:3]
	;; [unrolled: 1-line block ×4, first 2 shown]
	s_movk_i32 s2, 0x4000
	v_addc_co_u32_e32 v40, vcc, 0, v44, vcc
	v_add_co_u32_e32 v41, vcc, s2, v45
	s_movk_i32 s3, 0x7000
	v_addc_co_u32_e32 v42, vcc, 0, v44, vcc
	global_load_dword v50, v[39:40], off offset:1024
	global_load_dword v51, v[41:42], off offset:3072
	v_add_co_u32_e32 v39, vcc, s3, v45
	v_addc_co_u32_e32 v40, vcc, 0, v44, vcc
	global_load_dword v52, v[39:40], off offset:1024
	v_add_co_u32_e32 v39, vcc, 0x9000, v45
	v_addc_co_u32_e32 v40, vcc, 0, v44, vcc
	global_load_dword v53, v[39:40], off offset:3072
	ds_read2st64_b32 v[39:40], v57 offset0:16 offset1:36
	ds_read2st64_b32 v[41:42], v57 offset0:56 offset1:76
	;; [unrolled: 1-line block ×4, first 2 shown]
	s_waitcnt lgkmcnt(3)
	v_lshrrev_b32_e32 v54, 16, v39
	s_waitcnt lgkmcnt(2)
	v_lshrrev_b32_e32 v104, 16, v41
	;; [unrolled: 2-line block ×4, first 2 shown]
	v_lshrrev_b32_e32 v99, 16, v40
	v_lshrrev_b32_e32 v105, 16, v42
	;; [unrolled: 1-line block ×4, first 2 shown]
	s_waitcnt vmcnt(7)
	v_mul_f16_sdwa v110, v54, v31 dst_sel:DWORD dst_unused:UNUSED_PAD src0_sel:DWORD src1_sel:WORD_1
	v_mul_f16_sdwa v111, v39, v31 dst_sel:DWORD dst_unused:UNUSED_PAD src0_sel:DWORD src1_sel:WORD_1
	s_waitcnt vmcnt(6)
	v_mul_f16_sdwa v112, v104, v47 dst_sel:DWORD dst_unused:UNUSED_PAD src0_sel:DWORD src1_sel:WORD_1
	v_mul_f16_sdwa v113, v41, v47 dst_sel:DWORD dst_unused:UNUSED_PAD src0_sel:DWORD src1_sel:WORD_1
	;; [unrolled: 3-line block ×4, first 2 shown]
	v_fma_f16 v39, v39, v31, -v110
	v_fma_f16 v31, v54, v31, v111
	v_fma_f16 v41, v41, v47, -v112
	v_fma_f16 v47, v104, v47, v113
	;; [unrolled: 2-line block ×4, first 2 shown]
	v_pack_b32_f16 v31, v39, v31
	s_waitcnt vmcnt(3)
	v_mul_f16_sdwa v39, v99, v50 dst_sel:DWORD dst_unused:UNUSED_PAD src0_sel:DWORD src1_sel:WORD_1
	v_mul_f16_sdwa v54, v40, v50 dst_sel:DWORD dst_unused:UNUSED_PAD src0_sel:DWORD src1_sel:WORD_1
	v_pack_b32_f16 v41, v41, v47
	s_waitcnt vmcnt(2)
	v_mul_f16_sdwa v47, v105, v51 dst_sel:DWORD dst_unused:UNUSED_PAD src0_sel:DWORD src1_sel:WORD_1
	v_mul_f16_sdwa v104, v42, v51 dst_sel:DWORD dst_unused:UNUSED_PAD src0_sel:DWORD src1_sel:WORD_1
	;; [unrolled: 4-line block ×3, first 2 shown]
	v_pack_b32_f16 v45, v45, v49
	v_fma_f16 v39, v40, v50, -v39
	v_fma_f16 v40, v99, v50, v54
	v_fma_f16 v42, v42, v51, -v47
	v_fma_f16 v47, v105, v51, v104
	;; [unrolled: 2-line block ×3, first 2 shown]
	s_waitcnt vmcnt(0)
	v_mul_f16_sdwa v49, v109, v53 dst_sel:DWORD dst_unused:UNUSED_PAD src0_sel:DWORD src1_sel:WORD_1
	v_mul_f16_sdwa v50, v46, v53 dst_sel:DWORD dst_unused:UNUSED_PAD src0_sel:DWORD src1_sel:WORD_1
	v_pack_b32_f16 v39, v39, v40
	v_pack_b32_f16 v40, v42, v47
	;; [unrolled: 1-line block ×3, first 2 shown]
	v_fma_f16 v44, v46, v53, -v49
	v_fma_f16 v46, v109, v53, v50
	ds_write2st64_b32 v57, v31, v39 offset0:16 offset1:36
	ds_write2st64_b32 v57, v41, v40 offset0:56 offset1:76
	ds_write2st64_b32 v57, v43, v42 offset0:96 offset1:116
	v_pack_b32_f16 v31, v44, v46
	ds_write2st64_b32 v57, v45, v31 offset0:136 offset1:156
.LBB0_9:
	s_or_b64 exec, exec, s[4:5]
	s_waitcnt lgkmcnt(0)
	s_barrier
	ds_read2st64_b32 v[41:42], v57 offset1:8
	ds_read2st64_b32 v[39:40], v57 offset0:20 offset1:28
	ds_read2st64_b32 v[45:46], v57 offset0:40 offset1:48
	;; [unrolled: 1-line block ×7, first 2 shown]
	v_lshrrev_b32_e32 v104, 16, v98
	s_and_saveexec_b64 s[2:3], s[0:1]
	s_cbranch_execz .LBB0_11
; %bb.10:
	ds_read2st64_b32 v[35:36], v57 offset0:16 offset1:36
	ds_read2st64_b32 v[37:38], v57 offset0:56 offset1:76
	;; [unrolled: 1-line block ×4, first 2 shown]
	s_waitcnt lgkmcnt(3)
	v_lshrrev_b32_e32 v101, 16, v35
	v_lshrrev_b32_e32 v103, 16, v36
	s_waitcnt lgkmcnt(2)
	v_lshrrev_b32_e32 v100, 16, v37
	v_lshrrev_b32_e32 v102, 16, v38
	s_waitcnt lgkmcnt(1)
	v_lshrrev_b32_e32 v79, 16, v32
	s_waitcnt lgkmcnt(0)
	v_lshrrev_b32_e32 v104, 16, v33
	v_lshrrev_b32_e32 v80, 16, v34
	v_mov_b32_e32 v1, v31
.LBB0_11:
	s_or_b64 exec, exec, s[2:3]
	s_waitcnt lgkmcnt(3)
	v_pk_add_f16 v49, v41, v49 neg_lo:[0,1] neg_hi:[0,1]
	s_waitcnt lgkmcnt(2)
	v_pk_add_f16 v47, v39, v47 neg_lo:[0,1] neg_hi:[0,1]
	;; [unrolled: 2-line block ×4, first 2 shown]
	v_lshrrev_b32_e32 v106, 16, v49
	v_lshrrev_b32_e32 v110, 16, v47
	v_add_f16_sdwa v105, v49, v53 dst_sel:DWORD dst_unused:UNUSED_PAD src0_sel:DWORD src1_sel:WORD_1
	v_sub_f16_e32 v107, v106, v53
	v_add_f16_sdwa v109, v47, v51 dst_sel:DWORD dst_unused:UNUSED_PAD src0_sel:DWORD src1_sel:WORD_1
	v_sub_f16_e32 v111, v110, v51
	v_fma_f16 v108, v49, 2.0, -v105
	v_fma_f16 v106, v106, 2.0, -v107
	;; [unrolled: 1-line block ×4, first 2 shown]
	s_mov_b32 s4, 0xb9a8
	v_fma_f16 v113, v112, s4, v108
	v_fma_f16 v114, v110, s4, v106
	s_movk_i32 s5, 0x39a8
	v_fma_f16 v110, v110, s5, v113
	v_fma_f16 v112, v112, s4, v114
	;; [unrolled: 1-line block ×6, first 2 shown]
	v_pk_add_f16 v113, v42, v50 neg_lo:[0,1] neg_hi:[0,1]
	v_pk_add_f16 v114, v40, v48 neg_lo:[0,1] neg_hi:[0,1]
	;; [unrolled: 1-line block ×4, first 2 shown]
	v_lshrrev_b32_e32 v50, 16, v113
	v_lshrrev_b32_e32 v118, 16, v114
	v_sub_f16_e32 v115, v50, v54
	v_sub_f16_e32 v119, v118, v52
	v_add_f16_sdwa v48, v113, v54 dst_sel:DWORD dst_unused:UNUSED_PAD src0_sel:DWORD src1_sel:WORD_1
	v_fma_f16 v50, v50, 2.0, -v115
	v_add_f16_sdwa v117, v114, v52 dst_sel:DWORD dst_unused:UNUSED_PAD src0_sel:DWORD src1_sel:WORD_1
	v_fma_f16 v118, v118, 2.0, -v119
	v_fma_f16 v116, v113, 2.0, -v48
	;; [unrolled: 1-line block ×3, first 2 shown]
	v_fma_f16 v122, v118, s4, v50
	v_pk_fma_f16 v41, v41, 2.0, v49 op_sel_hi:[1,0,1] neg_lo:[0,0,1] neg_hi:[0,0,1]
	v_pk_fma_f16 v45, v45, 2.0, v53 op_sel_hi:[1,0,1] neg_lo:[0,0,1] neg_hi:[0,0,1]
	;; [unrolled: 1-line block ×4, first 2 shown]
	v_fma_f16 v121, v120, s4, v116
	v_fma_f16 v120, v120, s4, v122
	v_pk_add_f16 v45, v41, v45 neg_lo:[0,1] neg_hi:[0,1]
	v_pk_add_f16 v43, v39, v43 neg_lo:[0,1] neg_hi:[0,1]
	v_fma_f16 v118, v118, s5, v121
	v_fma_f16 v121, v50, 2.0, -v120
	v_fma_f16 v50, v117, s5, v48
	v_pk_fma_f16 v41, v41, 2.0, v45 op_sel_hi:[1,0,1] neg_lo:[0,0,1] neg_hi:[0,0,1]
	v_pk_fma_f16 v39, v39, 2.0, v43 op_sel_hi:[1,0,1] neg_lo:[0,0,1] neg_hi:[0,0,1]
	v_fma_f16 v122, v119, s5, v115
	v_fma_f16 v119, v119, s5, v50
	v_pk_add_f16 v47, v41, v39 neg_lo:[0,1] neg_hi:[0,1]
	v_fma_f16 v117, v117, s4, v122
	v_fma_f16 v122, v48, 2.0, -v119
	v_pk_fma_f16 v48, v41, 2.0, v47 op_sel_hi:[1,0,1] neg_lo:[0,0,1] neg_hi:[0,0,1]
	v_lshrrev_b32_e32 v41, 16, v45
	v_add_f16_sdwa v39, v45, v43 dst_sel:DWORD dst_unused:UNUSED_PAD src0_sel:DWORD src1_sel:WORD_1
	v_sub_f16_e32 v43, v41, v43
	v_fma_f16 v108, v108, 2.0, -v110
	v_fma_f16 v106, v106, 2.0, -v112
	;; [unrolled: 1-line block ×6, first 2 shown]
	v_pack_b32_f16 v51, v105, v107
	v_pack_b32_f16 v50, v45, v41
	;; [unrolled: 1-line block ×3, first 2 shown]
	s_barrier
	ds_write_b128 v81, v[48:51]
	v_pack_b32_f16 v49, v39, v43
	v_pk_fma_f16 v39, v42, 2.0, v113 op_sel_hi:[1,0,1] neg_lo:[0,0,1] neg_hi:[0,0,1]
	v_pk_fma_f16 v41, v46, 2.0, v54 op_sel_hi:[1,0,1] neg_lo:[0,0,1] neg_hi:[0,0,1]
	;; [unrolled: 1-line block ×4, first 2 shown]
	v_pk_add_f16 v41, v39, v41 neg_lo:[0,1] neg_hi:[0,1]
	v_pk_add_f16 v42, v40, v42 neg_lo:[0,1] neg_hi:[0,1]
	v_pk_fma_f16 v43, v39, 2.0, v41 op_sel_hi:[1,0,1] neg_lo:[0,0,1] neg_hi:[0,0,1]
	v_pk_fma_f16 v39, v40, 2.0, v42 op_sel_hi:[1,0,1] neg_lo:[0,0,1] neg_hi:[0,0,1]
	v_pk_add_f16 v39, v43, v39 neg_lo:[0,1] neg_hi:[0,1]
	v_pk_fma_f16 v40, v43, 2.0, v39 op_sel_hi:[1,0,1] neg_lo:[0,0,1] neg_hi:[0,0,1]
	v_lshrrev_b32_e32 v43, 16, v41
	v_add_f16_sdwa v44, v41, v42 dst_sel:DWORD dst_unused:UNUSED_PAD src0_sel:DWORD src1_sel:WORD_1
	v_sub_f16_e32 v45, v43, v42
	v_fma_f16 v116, v116, 2.0, -v118
	v_fma_f16 v115, v115, 2.0, -v117
	;; [unrolled: 1-line block ×4, first 2 shown]
	v_pack_b32_f16 v43, v122, v115
	v_pack_b32_f16 v42, v41, v42
	;; [unrolled: 1-line block ×3, first 2 shown]
	v_or_b32_e32 v99, 0x6800, v57
	v_or_b32_e32 v98, 0x4800, v57
	v_or_b32_e32 v31, 0x9800, v57
	v_pack_b32_f16 v50, v111, v109
	v_pack_b32_f16 v48, v110, v112
	ds_write_b128 v82, v[40:43]
	v_pack_b32_f16 v42, v119, v117
	v_pack_b32_f16 v41, v44, v45
	v_pack_b32_f16 v40, v118, v120
	ds_write_b128 v81, v[47:50] offset:16
	ds_write_b128 v82, v[39:42] offset:16
	s_and_saveexec_b64 s[2:3], s[0:1]
	s_cbranch_execz .LBB0_13
; %bb.12:
	v_sub_f16_e32 v39, v100, v104
	v_sub_f16_e32 v40, v35, v1
	;; [unrolled: 1-line block ×4, first 2 shown]
	v_add_f16_e32 v41, v39, v40
	v_sub_f16_e32 v42, v103, v79
	v_sub_f16_e32 v34, v38, v34
	v_add_f16_e32 v45, v44, v32
	v_sub_f16_e32 v43, v42, v34
	v_fma_f16 v46, v45, s5, v41
	v_sub_f16_sdwa v1, v101, v1 dst_sel:DWORD dst_unused:UNUSED_PAD src0_sel:DWORD src1_sel:WORD_1
	v_sub_f16_e32 v33, v37, v33
	v_fma_f16 v46, v43, s5, v46
	v_sub_f16_e32 v48, v1, v33
	v_fma_f16 v35, v35, 2.0, -v40
	v_fma_f16 v33, v37, 2.0, -v33
	v_fma_f16 v37, v103, 2.0, -v42
	v_fma_f16 v44, v102, 2.0, -v44
	v_fma_f16 v36, v36, 2.0, -v32
	v_fma_f16 v40, v40, 2.0, -v41
	v_fma_f16 v32, v32, 2.0, -v45
	v_fma_f16 v47, v41, 2.0, -v46
	v_sub_f16_e32 v33, v35, v33
	v_sub_f16_e32 v44, v37, v44
	v_fma_f16 v53, v101, 2.0, -v1
	v_fma_f16 v34, v38, 2.0, -v34
	;; [unrolled: 1-line block ×3, first 2 shown]
	v_fma_f16 v42, v32, s4, v40
	v_fma_f16 v1, v1, 2.0, -v48
	v_add_f16_e32 v51, v44, v33
	v_fma_f16 v39, v100, 2.0, -v39
	v_sub_f16_e32 v34, v36, v34
	v_fma_f16 v42, v41, s5, v42
	v_fma_f16 v41, v41, s4, v1
	v_fma_f16 v52, v33, 2.0, -v51
	v_sub_f16_e32 v39, v53, v39
	v_fma_f16 v41, v32, s4, v41
	v_fma_f16 v32, v35, 2.0, -v33
	v_fma_f16 v33, v36, 2.0, -v34
	v_fma_f16 v49, v43, s5, v48
	v_sub_f16_e32 v38, v39, v34
	v_sub_f16_e32 v36, v32, v33
	v_fma_f16 v33, v53, 2.0, -v39
	v_fma_f16 v34, v37, 2.0, -v44
	v_fma_f16 v49, v45, s4, v49
	v_sub_f16_e32 v37, v33, v34
	v_fma_f16 v50, v48, 2.0, -v49
	v_fma_f16 v54, v39, 2.0, -v38
	;; [unrolled: 1-line block ×6, first 2 shown]
	v_pack_b32_f16 v35, v47, v50
	v_pack_b32_f16 v34, v52, v54
	;; [unrolled: 1-line block ×4, first 2 shown]
	ds_write_b128 v78, v[32:35]
	v_pack_b32_f16 v35, v46, v49
	v_pack_b32_f16 v34, v51, v38
	;; [unrolled: 1-line block ×4, first 2 shown]
	ds_write_b128 v78, v[32:35] offset:16
.LBB0_13:
	s_or_b64 exec, exec, s[2:3]
	s_waitcnt lgkmcnt(0)
	s_barrier
	ds_read2st64_b32 v[32:33], v57 offset1:8
	ds_read2st64_b32 v[34:35], v57 offset0:32 offset1:40
	ds_read2st64_b32 v[36:37], v57 offset0:64 offset1:80
	;; [unrolled: 1-line block ×7, first 2 shown]
	ds_read_b32 v81, v98
	ds_read_b32 v82, v31
	;; [unrolled: 1-line block ×3, first 2 shown]
	ds_read_b32 v101, v57 offset:36864
	s_waitcnt lgkmcnt(10)
	v_lshrrev_b32_e32 v48, 16, v35
	v_mul_f16_sdwa v111, v6, v48 dst_sel:DWORD dst_unused:UNUSED_PAD src0_sel:WORD_1 src1_sel:DWORD
	s_waitcnt lgkmcnt(9)
	v_lshrrev_b32_e32 v49, 16, v37
	v_fma_f16 v111, v6, v35, v111
	v_mul_f16_sdwa v35, v6, v35 dst_sel:DWORD dst_unused:UNUSED_PAD src0_sel:WORD_1 src1_sel:DWORD
	v_fma_f16 v35, v6, v48, -v35
	v_mul_f16_sdwa v48, v7, v49 dst_sel:DWORD dst_unused:UNUSED_PAD src0_sel:WORD_1 src1_sel:DWORD
	s_waitcnt lgkmcnt(8)
	v_lshrrev_b32_e32 v50, 16, v39
	v_fma_f16 v48, v7, v37, v48
	v_mul_f16_sdwa v37, v7, v37 dst_sel:DWORD dst_unused:UNUSED_PAD src0_sel:WORD_1 src1_sel:DWORD
	v_fma_f16 v37, v7, v49, -v37
	;; [unrolled: 6-line block ×5, first 2 shown]
	v_mul_f16_sdwa v53, v8, v54 dst_sel:DWORD dst_unused:UNUSED_PAD src0_sel:WORD_1 src1_sel:DWORD
	v_lshrrev_b32_e32 v79, 16, v41
	v_fma_f16 v53, v8, v44, v53
	v_mul_f16_sdwa v44, v8, v44 dst_sel:DWORD dst_unused:UNUSED_PAD src0_sel:WORD_1 src1_sel:DWORD
	v_fma_f16 v44, v8, v54, -v44
	v_mul_f16_sdwa v54, v6, v79 dst_sel:DWORD dst_unused:UNUSED_PAD src0_sel:WORD_1 src1_sel:DWORD
	v_lshrrev_b32_e32 v80, 16, v43
	v_fma_f16 v54, v6, v41, v54
	v_mul_f16_sdwa v41, v6, v41 dst_sel:DWORD dst_unused:UNUSED_PAD src0_sel:WORD_1 src1_sel:DWORD
	v_fma_f16 v41, v6, v79, -v41
	;; [unrolled: 5-line block ×4, first 2 shown]
	v_mul_f16_sdwa v102, v6, v104 dst_sel:DWORD dst_unused:UNUSED_PAD src0_sel:WORD_1 src1_sel:DWORD
	s_waitcnt lgkmcnt(1)
	v_lshrrev_b32_e32 v105, 16, v100
	v_fma_f16 v102, v6, v36, v102
	v_mul_f16_sdwa v36, v6, v36 dst_sel:DWORD dst_unused:UNUSED_PAD src0_sel:WORD_1 src1_sel:DWORD
	v_fma_f16 v36, v6, v104, -v36
	v_mul_f16_sdwa v104, v7, v105 dst_sel:DWORD dst_unused:UNUSED_PAD src0_sel:WORD_1 src1_sel:DWORD
	s_waitcnt lgkmcnt(0)
	v_lshrrev_b32_e32 v106, 16, v101
	v_fma_f16 v104, v7, v100, v104
	v_mul_f16_sdwa v100, v7, v100 dst_sel:DWORD dst_unused:UNUSED_PAD src0_sel:WORD_1 src1_sel:DWORD
	v_fma_f16 v100, v7, v105, -v100
	v_mul_f16_sdwa v105, v8, v106 dst_sel:DWORD dst_unused:UNUSED_PAD src0_sel:WORD_1 src1_sel:DWORD
	v_lshrrev_b32_e32 v108, 16, v81
	v_fma_f16 v105, v8, v101, v105
	v_mul_f16_sdwa v101, v8, v101 dst_sel:DWORD dst_unused:UNUSED_PAD src0_sel:WORD_1 src1_sel:DWORD
	v_fma_f16 v101, v8, v106, -v101
	v_mul_f16_sdwa v106, v6, v108 dst_sel:DWORD dst_unused:UNUSED_PAD src0_sel:WORD_1 src1_sel:DWORD
	;; [unrolled: 5-line block ×3, first 2 shown]
	v_lshrrev_b32_e32 v110, 16, v82
	v_fma_f16 v81, v7, v38, v81
	v_mul_f16_sdwa v38, v7, v38 dst_sel:DWORD dst_unused:UNUSED_PAD src0_sel:WORD_1 src1_sel:DWORD
	v_lshrrev_b32_e32 v1, 16, v32
	v_fma_f16 v7, v7, v109, -v38
	v_mul_f16_sdwa v38, v8, v110 dst_sel:DWORD dst_unused:UNUSED_PAD src0_sel:WORD_1 src1_sel:DWORD
	v_fma_f16 v38, v8, v82, v38
	v_mul_f16_sdwa v82, v8, v82 dst_sel:DWORD dst_unused:UNUSED_PAD src0_sel:WORD_1 src1_sel:DWORD
	v_sub_f16_e32 v48, v32, v48
	v_sub_f16_e32 v37, v1, v37
	;; [unrolled: 1-line block ×4, first 2 shown]
	v_lshrrev_b32_e32 v51, 16, v33
	v_fma_f16 v8, v8, v110, -v82
	v_fma_f16 v32, v32, 2.0, -v48
	v_fma_f16 v1, v1, 2.0, -v37
	;; [unrolled: 1-line block ×4, first 2 shown]
	v_sub_f16_e32 v82, v32, v82
	v_sub_f16_e32 v35, v1, v35
	v_add_f16_e32 v39, v48, v39
	v_sub_f16_e32 v49, v37, v49
	v_sub_f16_e32 v52, v33, v52
	;; [unrolled: 1-line block ×5, first 2 shown]
	v_lshrrev_b32_e32 v78, 16, v46
	v_fma_f16 v32, v32, 2.0, -v82
	v_fma_f16 v1, v1, 2.0, -v35
	;; [unrolled: 1-line block ×8, first 2 shown]
	v_sub_f16_e32 v50, v33, v50
	v_sub_f16_e32 v40, v51, v40
	v_add_f16_e32 v44, v52, v44
	v_sub_f16_e32 v53, v42, v53
	v_sub_f16_e32 v79, v46, v79
	;; [unrolled: 1-line block ×5, first 2 shown]
	v_pack_b32_f16 v1, v32, v1
	v_pack_b32_f16 v32, v48, v37
	v_lshrrev_b32_e32 v103, 16, v47
	v_fma_f16 v33, v33, 2.0, -v50
	v_fma_f16 v51, v51, 2.0, -v40
	;; [unrolled: 1-line block ×8, first 2 shown]
	s_barrier
	ds_write2_b32 v83, v1, v32 offset1:8
	v_pack_b32_f16 v1, v82, v35
	v_pack_b32_f16 v32, v39, v49
	v_sub_f16_e32 v54, v46, v54
	v_sub_f16_e32 v41, v78, v41
	v_add_f16_e32 v45, v79, v45
	v_sub_f16_e32 v80, v43, v80
	v_sub_f16_e32 v104, v47, v104
	v_sub_f16_e32 v100, v103, v100
	v_sub_f16_e32 v105, v102, v105
	v_sub_f16_e32 v101, v36, v101
	ds_write2_b32 v83, v1, v32 offset0:16 offset1:24
	v_pack_b32_f16 v1, v33, v51
	v_pack_b32_f16 v32, v52, v42
	v_lshrrev_b32_e32 v107, 16, v34
	v_fma_f16 v46, v46, 2.0, -v54
	v_fma_f16 v78, v78, 2.0, -v41
	;; [unrolled: 1-line block ×8, first 2 shown]
	ds_write2_b32 v84, v1, v32 offset1:8
	v_pack_b32_f16 v1, v50, v40
	v_pack_b32_f16 v32, v44, v53
	v_sub_f16_e32 v102, v47, v102
	v_sub_f16_e32 v36, v103, v36
	v_add_f16_e32 v101, v104, v101
	v_sub_f16_e32 v105, v100, v105
	v_sub_f16_e32 v81, v34, v81
	;; [unrolled: 1-line block ×5, first 2 shown]
	ds_write2_b32 v84, v1, v32 offset0:16 offset1:24
	v_pack_b32_f16 v1, v46, v78
	v_pack_b32_f16 v32, v79, v43
	v_fma_f16 v47, v47, 2.0, -v102
	v_fma_f16 v103, v103, 2.0, -v36
	;; [unrolled: 1-line block ×8, first 2 shown]
	ds_write2_b32 v85, v1, v32 offset1:8
	v_pack_b32_f16 v1, v54, v41
	v_pack_b32_f16 v32, v45, v80
	v_sub_f16_e32 v106, v34, v106
	v_sub_f16_e32 v6, v107, v6
	v_add_f16_e32 v8, v81, v8
	v_sub_f16_e32 v38, v7, v38
	ds_write2_b32 v85, v1, v32 offset0:16 offset1:24
	v_pack_b32_f16 v1, v47, v103
	v_pack_b32_f16 v32, v104, v100
	v_fma_f16 v34, v34, 2.0, -v106
	v_fma_f16 v107, v107, 2.0, -v6
	;; [unrolled: 1-line block ×4, first 2 shown]
	ds_write2_b32 v86, v1, v32 offset1:8
	v_pack_b32_f16 v1, v102, v36
	v_pack_b32_f16 v32, v101, v105
	ds_write2_b32 v86, v1, v32 offset0:16 offset1:24
	v_pack_b32_f16 v1, v34, v107
	v_pack_b32_f16 v7, v81, v7
	ds_write2_b32 v87, v1, v7 offset1:8
	v_pack_b32_f16 v1, v106, v6
	v_pack_b32_f16 v6, v8, v38
	ds_write2_b32 v87, v1, v6 offset0:16 offset1:24
	s_waitcnt lgkmcnt(0)
	s_barrier
	ds_read2st64_b32 v[6:7], v57 offset1:8
	ds_read2st64_b32 v[32:33], v57 offset0:32 offset1:40
	ds_read2st64_b32 v[34:35], v57 offset0:64 offset1:80
	;; [unrolled: 1-line block ×7, first 2 shown]
	ds_read_b32 v78, v98
	ds_read_b32 v79, v31
	;; [unrolled: 1-line block ×3, first 2 shown]
	ds_read_b32 v81, v57 offset:36864
	s_waitcnt lgkmcnt(10)
	v_lshrrev_b32_e32 v8, 16, v33
	v_mul_f16_sdwa v103, v9, v8 dst_sel:DWORD dst_unused:UNUSED_PAD src0_sel:WORD_1 src1_sel:DWORD
	s_waitcnt lgkmcnt(9)
	v_lshrrev_b32_e32 v46, 16, v35
	v_fma_f16 v103, v9, v33, v103
	v_mul_f16_sdwa v33, v9, v33 dst_sel:DWORD dst_unused:UNUSED_PAD src0_sel:WORD_1 src1_sel:DWORD
	v_fma_f16 v8, v9, v8, -v33
	v_mul_f16_sdwa v33, v10, v46 dst_sel:DWORD dst_unused:UNUSED_PAD src0_sel:WORD_1 src1_sel:DWORD
	s_waitcnt lgkmcnt(8)
	v_lshrrev_b32_e32 v47, 16, v37
	v_fma_f16 v33, v10, v35, v33
	v_mul_f16_sdwa v35, v10, v35 dst_sel:DWORD dst_unused:UNUSED_PAD src0_sel:WORD_1 src1_sel:DWORD
	v_fma_f16 v35, v10, v46, -v35
	;; [unrolled: 6-line block ×5, first 2 shown]
	v_mul_f16_sdwa v50, v11, v51 dst_sel:DWORD dst_unused:UNUSED_PAD src0_sel:WORD_1 src1_sel:DWORD
	v_lshrrev_b32_e32 v53, 16, v39
	v_fma_f16 v50, v11, v42, v50
	v_mul_f16_sdwa v42, v11, v42 dst_sel:DWORD dst_unused:UNUSED_PAD src0_sel:WORD_1 src1_sel:DWORD
	v_fma_f16 v42, v11, v51, -v42
	v_mul_f16_sdwa v51, v9, v53 dst_sel:DWORD dst_unused:UNUSED_PAD src0_sel:WORD_1 src1_sel:DWORD
	v_lshrrev_b32_e32 v54, 16, v41
	v_fma_f16 v51, v9, v39, v51
	v_mul_f16_sdwa v39, v9, v39 dst_sel:DWORD dst_unused:UNUSED_PAD src0_sel:WORD_1 src1_sel:DWORD
	v_fma_f16 v39, v9, v53, -v39
	;; [unrolled: 5-line block ×4, first 2 shown]
	v_mul_f16_sdwa v82, v9, v84 dst_sel:DWORD dst_unused:UNUSED_PAD src0_sel:WORD_1 src1_sel:DWORD
	s_waitcnt lgkmcnt(1)
	v_lshrrev_b32_e32 v85, 16, v80
	v_fma_f16 v82, v9, v34, v82
	v_mul_f16_sdwa v34, v9, v34 dst_sel:DWORD dst_unused:UNUSED_PAD src0_sel:WORD_1 src1_sel:DWORD
	v_fma_f16 v34, v9, v84, -v34
	v_mul_f16_sdwa v84, v10, v85 dst_sel:DWORD dst_unused:UNUSED_PAD src0_sel:WORD_1 src1_sel:DWORD
	s_waitcnt lgkmcnt(0)
	v_lshrrev_b32_e32 v86, 16, v81
	v_fma_f16 v84, v10, v80, v84
	v_mul_f16_sdwa v80, v10, v80 dst_sel:DWORD dst_unused:UNUSED_PAD src0_sel:WORD_1 src1_sel:DWORD
	v_fma_f16 v80, v10, v85, -v80
	v_mul_f16_sdwa v85, v11, v86 dst_sel:DWORD dst_unused:UNUSED_PAD src0_sel:WORD_1 src1_sel:DWORD
	v_lshrrev_b32_e32 v100, 16, v78
	v_fma_f16 v85, v11, v81, v85
	v_mul_f16_sdwa v81, v11, v81 dst_sel:DWORD dst_unused:UNUSED_PAD src0_sel:WORD_1 src1_sel:DWORD
	v_fma_f16 v81, v11, v86, -v81
	v_mul_f16_sdwa v86, v9, v100 dst_sel:DWORD dst_unused:UNUSED_PAD src0_sel:WORD_1 src1_sel:DWORD
	;; [unrolled: 5-line block ×3, first 2 shown]
	v_lshrrev_b32_e32 v102, 16, v79
	v_fma_f16 v78, v10, v36, v78
	v_mul_f16_sdwa v36, v10, v36 dst_sel:DWORD dst_unused:UNUSED_PAD src0_sel:WORD_1 src1_sel:DWORD
	v_lshrrev_b32_e32 v1, 16, v6
	v_fma_f16 v10, v10, v101, -v36
	v_mul_f16_sdwa v36, v11, v102 dst_sel:DWORD dst_unused:UNUSED_PAD src0_sel:WORD_1 src1_sel:DWORD
	v_fma_f16 v36, v11, v79, v36
	v_mul_f16_sdwa v79, v11, v79 dst_sel:DWORD dst_unused:UNUSED_PAD src0_sel:WORD_1 src1_sel:DWORD
	v_sub_f16_e32 v33, v6, v33
	v_sub_f16_e32 v35, v1, v35
	;; [unrolled: 1-line block ×4, first 2 shown]
	v_lshrrev_b32_e32 v48, 16, v7
	v_fma_f16 v11, v11, v102, -v79
	v_fma_f16 v6, v6, 2.0, -v33
	v_fma_f16 v1, v1, 2.0, -v35
	v_fma_f16 v79, v103, 2.0, -v46
	v_fma_f16 v8, v8, 2.0, -v37
	v_sub_f16_e32 v79, v6, v79
	v_sub_f16_e32 v8, v1, v8
	v_add_f16_e32 v37, v33, v37
	v_sub_f16_e32 v46, v35, v46
	v_sub_f16_e32 v49, v7, v49
	;; [unrolled: 1-line block ×5, first 2 shown]
	v_lshrrev_b32_e32 v52, 16, v44
	v_fma_f16 v6, v6, 2.0, -v79
	v_fma_f16 v1, v1, 2.0, -v8
	;; [unrolled: 1-line block ×8, first 2 shown]
	v_sub_f16_e32 v47, v7, v47
	v_sub_f16_e32 v38, v48, v38
	v_add_f16_e32 v42, v49, v42
	v_sub_f16_e32 v50, v40, v50
	v_sub_f16_e32 v53, v44, v53
	;; [unrolled: 1-line block ×5, first 2 shown]
	v_pack_b32_f16 v1, v6, v1
	v_pack_b32_f16 v6, v33, v35
	v_lshrrev_b32_e32 v83, 16, v45
	v_fma_f16 v7, v7, 2.0, -v47
	v_fma_f16 v48, v48, 2.0, -v38
	;; [unrolled: 1-line block ×8, first 2 shown]
	s_barrier
	ds_write2_b32 v88, v1, v6 offset1:32
	v_pack_b32_f16 v1, v79, v8
	v_pack_b32_f16 v6, v37, v46
	v_sub_f16_e32 v51, v44, v51
	v_sub_f16_e32 v39, v52, v39
	v_add_f16_e32 v43, v53, v43
	v_sub_f16_e32 v54, v41, v54
	v_sub_f16_e32 v84, v45, v84
	v_sub_f16_e32 v80, v83, v80
	v_sub_f16_e32 v85, v82, v85
	v_sub_f16_e32 v81, v34, v81
	ds_write2_b32 v88, v1, v6 offset0:64 offset1:96
	v_pack_b32_f16 v1, v7, v48
	v_pack_b32_f16 v6, v49, v40
	v_lshrrev_b32_e32 v87, 16, v32
	v_fma_f16 v44, v44, 2.0, -v51
	v_fma_f16 v52, v52, 2.0, -v39
	;; [unrolled: 1-line block ×8, first 2 shown]
	ds_write2_b32 v89, v1, v6 offset1:32
	v_pack_b32_f16 v1, v47, v38
	v_pack_b32_f16 v6, v42, v50
	v_sub_f16_e32 v82, v45, v82
	v_sub_f16_e32 v34, v83, v34
	v_add_f16_e32 v81, v84, v81
	v_sub_f16_e32 v85, v80, v85
	v_sub_f16_e32 v78, v32, v78
	;; [unrolled: 1-line block ×5, first 2 shown]
	ds_write2_b32 v89, v1, v6 offset0:64 offset1:96
	v_pack_b32_f16 v1, v44, v52
	v_pack_b32_f16 v6, v53, v41
	v_fma_f16 v45, v45, 2.0, -v82
	v_fma_f16 v83, v83, 2.0, -v34
	;; [unrolled: 1-line block ×8, first 2 shown]
	ds_write2_b32 v90, v1, v6 offset1:32
	v_pack_b32_f16 v1, v51, v39
	v_pack_b32_f16 v6, v43, v54
	v_sub_f16_e32 v86, v32, v86
	v_sub_f16_e32 v9, v87, v9
	v_add_f16_e32 v11, v78, v11
	v_sub_f16_e32 v36, v10, v36
	ds_write2_b32 v90, v1, v6 offset0:64 offset1:96
	v_pack_b32_f16 v1, v45, v83
	v_pack_b32_f16 v6, v84, v80
	v_fma_f16 v32, v32, 2.0, -v86
	v_fma_f16 v87, v87, 2.0, -v9
	;; [unrolled: 1-line block ×4, first 2 shown]
	ds_write2_b32 v91, v1, v6 offset1:32
	v_pack_b32_f16 v1, v82, v34
	v_pack_b32_f16 v6, v81, v85
	ds_write2_b32 v91, v1, v6 offset0:64 offset1:96
	v_pack_b32_f16 v1, v32, v87
	v_pack_b32_f16 v6, v78, v10
	ds_write2_b32 v92, v1, v6 offset1:32
	v_pack_b32_f16 v1, v86, v9
	v_pack_b32_f16 v6, v11, v36
	ds_write2_b32 v92, v1, v6 offset0:64 offset1:96
	s_waitcnt lgkmcnt(0)
	s_barrier
	ds_read2st64_b32 v[6:7], v57 offset1:8
	ds_read2st64_b32 v[8:9], v57 offset0:32 offset1:40
	ds_read2st64_b32 v[10:11], v57 offset0:64 offset1:80
	;; [unrolled: 1-line block ×7, first 2 shown]
	ds_read_b32 v52, v98
	ds_read_b32 v53, v31
	;; [unrolled: 1-line block ×3, first 2 shown]
	ds_read_b32 v78, v57 offset:36864
	s_waitcnt lgkmcnt(10)
	v_lshrrev_b32_e32 v42, 16, v9
	v_mul_f16_sdwa v88, v12, v42 dst_sel:DWORD dst_unused:UNUSED_PAD src0_sel:WORD_1 src1_sel:DWORD
	s_waitcnt lgkmcnt(9)
	v_lshrrev_b32_e32 v43, 16, v11
	v_fma_f16 v88, v12, v9, v88
	v_mul_f16_sdwa v9, v12, v9 dst_sel:DWORD dst_unused:UNUSED_PAD src0_sel:WORD_1 src1_sel:DWORD
	v_fma_f16 v9, v12, v42, -v9
	v_mul_f16_sdwa v42, v13, v43 dst_sel:DWORD dst_unused:UNUSED_PAD src0_sel:WORD_1 src1_sel:DWORD
	s_waitcnt lgkmcnt(8)
	v_lshrrev_b32_e32 v44, 16, v33
	v_fma_f16 v42, v13, v11, v42
	v_mul_f16_sdwa v11, v13, v11 dst_sel:DWORD dst_unused:UNUSED_PAD src0_sel:WORD_1 src1_sel:DWORD
	v_fma_f16 v11, v13, v43, -v11
	;; [unrolled: 6-line block ×5, first 2 shown]
	v_mul_f16_sdwa v47, v14, v48 dst_sel:DWORD dst_unused:UNUSED_PAD src0_sel:WORD_1 src1_sel:DWORD
	v_lshrrev_b32_e32 v50, 16, v35
	v_fma_f16 v47, v14, v38, v47
	v_mul_f16_sdwa v38, v14, v38 dst_sel:DWORD dst_unused:UNUSED_PAD src0_sel:WORD_1 src1_sel:DWORD
	v_fma_f16 v38, v14, v48, -v38
	v_mul_f16_sdwa v48, v12, v50 dst_sel:DWORD dst_unused:UNUSED_PAD src0_sel:WORD_1 src1_sel:DWORD
	v_lshrrev_b32_e32 v51, 16, v37
	v_fma_f16 v48, v12, v35, v48
	v_mul_f16_sdwa v35, v12, v35 dst_sel:DWORD dst_unused:UNUSED_PAD src0_sel:WORD_1 src1_sel:DWORD
	v_fma_f16 v35, v12, v50, -v35
	;; [unrolled: 5-line block ×4, first 2 shown]
	v_mul_f16_sdwa v79, v12, v81 dst_sel:DWORD dst_unused:UNUSED_PAD src0_sel:WORD_1 src1_sel:DWORD
	s_waitcnt lgkmcnt(1)
	v_lshrrev_b32_e32 v82, 16, v54
	v_fma_f16 v79, v12, v10, v79
	v_mul_f16_sdwa v10, v12, v10 dst_sel:DWORD dst_unused:UNUSED_PAD src0_sel:WORD_1 src1_sel:DWORD
	v_fma_f16 v10, v12, v81, -v10
	v_mul_f16_sdwa v81, v13, v82 dst_sel:DWORD dst_unused:UNUSED_PAD src0_sel:WORD_1 src1_sel:DWORD
	s_waitcnt lgkmcnt(0)
	v_lshrrev_b32_e32 v83, 16, v78
	v_fma_f16 v81, v13, v54, v81
	v_mul_f16_sdwa v54, v13, v54 dst_sel:DWORD dst_unused:UNUSED_PAD src0_sel:WORD_1 src1_sel:DWORD
	v_fma_f16 v54, v13, v82, -v54
	v_mul_f16_sdwa v82, v14, v83 dst_sel:DWORD dst_unused:UNUSED_PAD src0_sel:WORD_1 src1_sel:DWORD
	v_lshrrev_b32_e32 v85, 16, v52
	v_fma_f16 v82, v14, v78, v82
	v_mul_f16_sdwa v78, v14, v78 dst_sel:DWORD dst_unused:UNUSED_PAD src0_sel:WORD_1 src1_sel:DWORD
	v_fma_f16 v78, v14, v83, -v78
	v_mul_f16_sdwa v83, v12, v85 dst_sel:DWORD dst_unused:UNUSED_PAD src0_sel:WORD_1 src1_sel:DWORD
	;; [unrolled: 5-line block ×3, first 2 shown]
	v_lshrrev_b32_e32 v87, 16, v53
	v_fma_f16 v52, v13, v32, v52
	v_mul_f16_sdwa v32, v13, v32 dst_sel:DWORD dst_unused:UNUSED_PAD src0_sel:WORD_1 src1_sel:DWORD
	v_lshrrev_b32_e32 v1, 16, v6
	v_fma_f16 v13, v13, v86, -v32
	v_mul_f16_sdwa v32, v14, v87 dst_sel:DWORD dst_unused:UNUSED_PAD src0_sel:WORD_1 src1_sel:DWORD
	v_fma_f16 v32, v14, v53, v32
	v_mul_f16_sdwa v53, v14, v53 dst_sel:DWORD dst_unused:UNUSED_PAD src0_sel:WORD_1 src1_sel:DWORD
	v_sub_f16_e32 v42, v6, v42
	v_sub_f16_e32 v11, v1, v11
	;; [unrolled: 1-line block ×4, first 2 shown]
	v_lshrrev_b32_e32 v45, 16, v7
	v_fma_f16 v14, v14, v87, -v53
	v_fma_f16 v6, v6, 2.0, -v42
	v_fma_f16 v1, v1, 2.0, -v11
	;; [unrolled: 1-line block ×4, first 2 shown]
	v_sub_f16_e32 v53, v6, v53
	v_sub_f16_e32 v9, v1, v9
	v_add_f16_e32 v33, v42, v33
	v_sub_f16_e32 v43, v11, v43
	v_sub_f16_e32 v46, v7, v46
	;; [unrolled: 1-line block ×5, first 2 shown]
	v_lshrrev_b32_e32 v49, 16, v40
	v_fma_f16 v6, v6, 2.0, -v53
	v_fma_f16 v1, v1, 2.0, -v9
	;; [unrolled: 1-line block ×8, first 2 shown]
	v_sub_f16_e32 v44, v7, v44
	v_sub_f16_e32 v34, v45, v34
	v_add_f16_e32 v38, v46, v38
	v_sub_f16_e32 v47, v36, v47
	v_sub_f16_e32 v50, v40, v50
	;; [unrolled: 1-line block ×5, first 2 shown]
	v_pack_b32_f16 v1, v6, v1
	v_pack_b32_f16 v6, v42, v11
	v_lshrrev_b32_e32 v80, 16, v41
	v_fma_f16 v7, v7, 2.0, -v44
	v_fma_f16 v45, v45, 2.0, -v34
	;; [unrolled: 1-line block ×8, first 2 shown]
	s_barrier
	ds_write2st64_b32 v93, v1, v6 offset1:2
	v_pack_b32_f16 v1, v53, v9
	v_pack_b32_f16 v6, v33, v43
	v_sub_f16_e32 v48, v40, v48
	v_sub_f16_e32 v35, v49, v35
	v_add_f16_e32 v39, v50, v39
	v_sub_f16_e32 v51, v37, v51
	v_sub_f16_e32 v81, v41, v81
	;; [unrolled: 1-line block ×5, first 2 shown]
	ds_write2st64_b32 v93, v1, v6 offset0:4 offset1:6
	v_pack_b32_f16 v1, v7, v45
	v_pack_b32_f16 v6, v46, v36
	v_lshrrev_b32_e32 v84, 16, v8
	v_fma_f16 v40, v40, 2.0, -v48
	v_fma_f16 v49, v49, 2.0, -v35
	;; [unrolled: 1-line block ×8, first 2 shown]
	ds_write2st64_b32 v94, v1, v6 offset1:2
	v_pack_b32_f16 v1, v44, v34
	v_pack_b32_f16 v6, v38, v47
	v_sub_f16_e32 v79, v41, v79
	v_sub_f16_e32 v10, v80, v10
	v_add_f16_e32 v78, v81, v78
	v_sub_f16_e32 v82, v54, v82
	v_sub_f16_e32 v52, v8, v52
	;; [unrolled: 1-line block ×5, first 2 shown]
	ds_write2st64_b32 v94, v1, v6 offset0:4 offset1:6
	v_pack_b32_f16 v1, v40, v49
	v_pack_b32_f16 v6, v50, v37
	v_fma_f16 v41, v41, 2.0, -v79
	v_fma_f16 v80, v80, 2.0, -v10
	;; [unrolled: 1-line block ×8, first 2 shown]
	ds_write2st64_b32 v95, v1, v6 offset1:2
	v_pack_b32_f16 v1, v48, v35
	v_pack_b32_f16 v6, v39, v51
	v_sub_f16_e32 v83, v8, v83
	v_sub_f16_e32 v12, v84, v12
	v_add_f16_e32 v14, v52, v14
	v_sub_f16_e32 v32, v13, v32
	ds_write2st64_b32 v95, v1, v6 offset0:4 offset1:6
	v_pack_b32_f16 v1, v41, v80
	v_pack_b32_f16 v6, v81, v54
	v_fma_f16 v8, v8, 2.0, -v83
	v_fma_f16 v84, v84, 2.0, -v12
	;; [unrolled: 1-line block ×4, first 2 shown]
	ds_write2st64_b32 v96, v1, v6 offset1:2
	v_pack_b32_f16 v1, v79, v10
	v_pack_b32_f16 v6, v78, v82
	ds_write2st64_b32 v96, v1, v6 offset0:4 offset1:6
	v_pack_b32_f16 v1, v8, v84
	v_pack_b32_f16 v6, v52, v13
	ds_write2st64_b32 v97, v1, v6 offset1:2
	v_pack_b32_f16 v1, v83, v12
	v_pack_b32_f16 v6, v14, v32
	ds_write2st64_b32 v97, v1, v6 offset0:4 offset1:6
	s_waitcnt lgkmcnt(0)
	s_barrier
	ds_read2st64_b32 v[8:9], v57 offset1:8
	ds_read2st64_b32 v[10:11], v57 offset0:32 offset1:40
	ds_read2st64_b32 v[12:13], v57 offset0:64 offset1:80
	;; [unrolled: 1-line block ×4, first 2 shown]
	ds_read_b32 v44, v98
	s_waitcnt lgkmcnt(4)
	v_lshrrev_b32_e32 v40, 16, v10
	v_mul_f16_sdwa v85, v2, v40 dst_sel:DWORD dst_unused:UNUSED_PAD src0_sel:WORD_1 src1_sel:DWORD
	s_waitcnt lgkmcnt(3)
	v_lshrrev_b32_e32 v41, 16, v12
	v_fma_f16 v85, v2, v10, v85
	v_mul_f16_sdwa v10, v2, v10 dst_sel:DWORD dst_unused:UNUSED_PAD src0_sel:WORD_1 src1_sel:DWORD
	v_fma_f16 v10, v2, v40, -v10
	v_mul_f16_sdwa v40, v3, v41 dst_sel:DWORD dst_unused:UNUSED_PAD src0_sel:WORD_1 src1_sel:DWORD
	s_waitcnt lgkmcnt(2)
	v_lshrrev_b32_e32 v42, 16, v33
	v_fma_f16 v40, v3, v12, v40
	v_mul_f16_sdwa v12, v3, v12 dst_sel:DWORD dst_unused:UNUSED_PAD src0_sel:WORD_1 src1_sel:DWORD
	v_fma_f16 v12, v3, v41, -v12
	v_mul_f16_sdwa v41, v4, v42 dst_sel:DWORD dst_unused:UNUSED_PAD src0_sel:WORD_1 src1_sel:DWORD
	s_waitcnt lgkmcnt(1)
	v_lshrrev_b32_e32 v43, 16, v34
	v_fma_f16 v41, v4, v33, v41
	v_mul_f16_sdwa v33, v4, v33 dst_sel:DWORD dst_unused:UNUSED_PAD src0_sel:WORD_1 src1_sel:DWORD
	ds_read_b32 v47, v31
	ds_read_b32 v48, v99
	v_fma_f16 v33, v4, v42, -v33
	v_mul_f16_sdwa v42, v5, v43 dst_sel:DWORD dst_unused:UNUSED_PAD src0_sel:WORD_1 src1_sel:DWORD
	v_lshrrev_b32_e32 v46, 16, v11
	v_fma_f16 v42, v5, v34, v42
	v_mul_f16_sdwa v34, v5, v34 dst_sel:DWORD dst_unused:UNUSED_PAD src0_sel:WORD_1 src1_sel:DWORD
	v_fma_f16 v34, v5, v43, -v34
	v_mul_f16_sdwa v43, v2, v46 dst_sel:DWORD dst_unused:UNUSED_PAD src0_sel:WORD_1 src1_sel:DWORD
	s_waitcnt lgkmcnt(2)
	v_lshrrev_b32_e32 v49, 16, v44
	v_fma_f16 v43, v2, v11, v43
	v_mul_f16_sdwa v11, v2, v11 dst_sel:DWORD dst_unused:UNUSED_PAD src0_sel:WORD_1 src1_sel:DWORD
	v_fma_f16 v11, v2, v46, -v11
	v_mul_f16_sdwa v46, v3, v49 dst_sel:DWORD dst_unused:UNUSED_PAD src0_sel:WORD_1 src1_sel:DWORD
	ds_read2st64_b32 v[6:7], v57 offset0:16 offset1:24
	ds_read2st64_b32 v[36:37], v57 offset0:48 offset1:56
	ds_read_b32 v50, v57 offset:36864
	s_waitcnt lgkmcnt(3)
	v_lshrrev_b32_e32 v51, 16, v48
	v_fma_f16 v46, v3, v44, v46
	v_mul_f16_sdwa v44, v3, v44 dst_sel:DWORD dst_unused:UNUSED_PAD src0_sel:WORD_1 src1_sel:DWORD
	v_fma_f16 v44, v3, v49, -v44
	v_mul_f16_sdwa v49, v4, v51 dst_sel:DWORD dst_unused:UNUSED_PAD src0_sel:WORD_1 src1_sel:DWORD
	v_lshrrev_b32_e32 v52, 16, v35
	v_fma_f16 v49, v4, v48, v49
	v_mul_f16_sdwa v48, v4, v48 dst_sel:DWORD dst_unused:UNUSED_PAD src0_sel:WORD_1 src1_sel:DWORD
	ds_read2st64_b32 v[38:39], v57 offset0:112 offset1:120
	v_fma_f16 v48, v4, v51, -v48
	v_mul_f16_sdwa v51, v5, v52 dst_sel:DWORD dst_unused:UNUSED_PAD src0_sel:WORD_1 src1_sel:DWORD
	s_waitcnt lgkmcnt(2)
	v_lshrrev_b32_e32 v54, 16, v36
	v_fma_f16 v51, v5, v35, v51
	v_mul_f16_sdwa v35, v5, v35 dst_sel:DWORD dst_unused:UNUSED_PAD src0_sel:WORD_1 src1_sel:DWORD
	v_fma_f16 v35, v5, v52, -v35
	v_mul_f16_sdwa v52, v2, v54 dst_sel:DWORD dst_unused:UNUSED_PAD src0_sel:WORD_1 src1_sel:DWORD
	v_lshrrev_b32_e32 v78, 16, v13
	v_fma_f16 v52, v2, v36, v52
	v_mul_f16_sdwa v36, v2, v36 dst_sel:DWORD dst_unused:UNUSED_PAD src0_sel:WORD_1 src1_sel:DWORD
	v_fma_f16 v36, v2, v54, -v36
	v_mul_f16_sdwa v54, v3, v78 dst_sel:DWORD dst_unused:UNUSED_PAD src0_sel:WORD_1 src1_sel:DWORD
	s_waitcnt lgkmcnt(0)
	v_lshrrev_b32_e32 v79, 16, v38
	v_fma_f16 v54, v3, v13, v54
	v_mul_f16_sdwa v13, v3, v13 dst_sel:DWORD dst_unused:UNUSED_PAD src0_sel:WORD_1 src1_sel:DWORD
	v_fma_f16 v13, v3, v78, -v13
	v_mul_f16_sdwa v78, v4, v79 dst_sel:DWORD dst_unused:UNUSED_PAD src0_sel:WORD_1 src1_sel:DWORD
	v_lshrrev_b32_e32 v80, 16, v50
	v_fma_f16 v78, v4, v38, v78
	v_mul_f16_sdwa v38, v4, v38 dst_sel:DWORD dst_unused:UNUSED_PAD src0_sel:WORD_1 src1_sel:DWORD
	v_fma_f16 v38, v4, v79, -v38
	v_mul_f16_sdwa v79, v5, v80 dst_sel:DWORD dst_unused:UNUSED_PAD src0_sel:WORD_1 src1_sel:DWORD
	;; [unrolled: 5-line block ×6, first 2 shown]
	v_add_f16_e32 v81, v40, v41
	v_fma_f16 v39, v5, v47, v39
	v_mul_f16_sdwa v47, v5, v47 dst_sel:DWORD dst_unused:UNUSED_PAD src0_sel:WORD_1 src1_sel:DWORD
	v_fma_f16 v81, v81, -0.5, v8
	v_sub_f16_e32 v82, v10, v34
	s_mov_b32 s3, 0xbb9c
	s_movk_i32 s5, 0x3b9c
	v_fma_f16 v5, v5, v84, -v47
	v_fma_f16 v83, v82, s3, v81
	v_sub_f16_e32 v84, v12, v33
	s_mov_b32 s2, 0xb8b4
	v_sub_f16_e32 v86, v85, v40
	v_sub_f16_e32 v87, v42, v41
	v_fma_f16 v81, v82, s5, v81
	s_movk_i32 s14, 0x38b4
	v_fma_f16 v83, v84, s2, v83
	v_add_f16_e32 v86, v86, v87
	s_movk_i32 s4, 0x34f2
	v_fma_f16 v81, v84, s14, v81
	v_add_f16_e32 v47, v8, v85
	v_fma_f16 v83, v86, s4, v83
	v_fma_f16 v81, v86, s4, v81
	v_add_f16_e32 v86, v85, v42
	v_lshrrev_b32_e32 v14, 16, v8
	v_add_f16_e32 v47, v47, v40
	v_fma_f16 v8, v86, -0.5, v8
	v_add_f16_e32 v47, v47, v41
	v_fma_f16 v86, v84, s5, v8
	v_fma_f16 v8, v84, s3, v8
	v_add_f16_e32 v84, v12, v33
	v_add_f16_e32 v47, v47, v42
	v_sub_f16_e32 v87, v40, v85
	v_sub_f16_e32 v88, v41, v42
	v_fma_f16 v84, v84, -0.5, v14
	v_sub_f16_e32 v42, v85, v42
	v_fma_f16 v86, v82, s2, v86
	v_add_f16_e32 v87, v87, v88
	v_fma_f16 v8, v82, s14, v8
	v_fma_f16 v85, v42, s5, v84
	v_sub_f16_e32 v40, v40, v41
	v_fma_f16 v86, v87, s4, v86
	v_fma_f16 v8, v87, s4, v8
	;; [unrolled: 1-line block ×3, first 2 shown]
	v_sub_f16_e32 v85, v10, v12
	v_sub_f16_e32 v87, v34, v33
	v_fma_f16 v84, v42, s3, v84
	v_add_f16_e32 v85, v85, v87
	v_fma_f16 v84, v40, s2, v84
	v_add_f16_e32 v82, v14, v10
	v_fma_f16 v41, v85, s4, v41
	v_fma_f16 v84, v85, s4, v84
	v_add_f16_e32 v85, v10, v34
	v_add_f16_e32 v82, v82, v12
	v_fma_f16 v14, v85, -0.5, v14
	v_add_f16_e32 v82, v82, v33
	v_fma_f16 v85, v40, s3, v14
	v_sub_f16_e32 v10, v12, v10
	v_sub_f16_e32 v12, v33, v34
	v_add_f16_e32 v33, v46, v49
	v_add_f16_e32 v82, v82, v34
	v_fma_f16 v85, v42, s14, v85
	v_add_f16_e32 v10, v10, v12
	v_fma_f16 v14, v40, s5, v14
	v_fma_f16 v33, v33, -0.5, v9
	v_sub_f16_e32 v34, v11, v35
	v_fma_f16 v12, v10, s4, v85
	v_fma_f16 v14, v42, s2, v14
	;; [unrolled: 1-line block ×3, first 2 shown]
	v_sub_f16_e32 v42, v44, v48
	v_sub_f16_e32 v85, v43, v46
	;; [unrolled: 1-line block ×3, first 2 shown]
	v_fma_f16 v33, v34, s5, v33
	v_fma_f16 v40, v42, s2, v40
	v_add_f16_e32 v85, v85, v87
	v_fma_f16 v33, v42, s14, v33
	v_fma_f16 v40, v85, s4, v40
	;; [unrolled: 1-line block ×3, first 2 shown]
	v_add_f16_e32 v85, v43, v51
	v_lshrrev_b32_e32 v45, 16, v9
	v_fma_f16 v10, v10, s4, v14
	v_add_f16_e32 v14, v9, v43
	v_fma_f16 v9, v85, -0.5, v9
	v_add_f16_e32 v14, v14, v46
	v_fma_f16 v85, v42, s5, v9
	v_fma_f16 v9, v42, s3, v9
	v_add_f16_e32 v42, v44, v48
	v_add_f16_e32 v14, v14, v49
	v_sub_f16_e32 v87, v46, v43
	v_sub_f16_e32 v88, v49, v51
	v_fma_f16 v42, v42, -0.5, v45
	v_sub_f16_e32 v43, v43, v51
	v_add_f16_e32 v14, v14, v51
	v_fma_f16 v85, v34, s2, v85
	v_add_f16_e32 v87, v87, v88
	v_fma_f16 v9, v34, s14, v9
	v_fma_f16 v51, v43, s5, v42
	v_sub_f16_e32 v46, v46, v49
	v_fma_f16 v85, v87, s4, v85
	v_fma_f16 v9, v87, s4, v9
	;; [unrolled: 1-line block ×3, first 2 shown]
	v_sub_f16_e32 v51, v11, v44
	v_sub_f16_e32 v87, v35, v48
	v_fma_f16 v42, v43, s3, v42
	v_add_f16_e32 v51, v51, v87
	v_fma_f16 v42, v46, s2, v42
	v_add_f16_e32 v34, v45, v11
	v_fma_f16 v49, v51, s4, v49
	v_fma_f16 v42, v51, s4, v42
	v_add_f16_e32 v51, v11, v35
	v_add_f16_e32 v34, v34, v44
	v_fma_f16 v45, v51, -0.5, v45
	v_add_f16_e32 v34, v34, v48
	v_fma_f16 v51, v46, s3, v45
	v_sub_f16_e32 v11, v44, v11
	v_fma_f16 v44, v46, s5, v45
	v_add_f16_e32 v34, v34, v35
	v_fma_f16 v51, v43, s14, v51
	v_sub_f16_e32 v35, v48, v35
	v_fma_f16 v43, v43, s2, v44
	v_add_f16_e32 v44, v54, v78
	v_add_f16_e32 v11, v11, v35
	v_fma_f16 v44, v44, -0.5, v6
	v_sub_f16_e32 v45, v36, v50
	v_fma_f16 v35, v11, s4, v51
	v_fma_f16 v46, v45, s3, v44
	v_sub_f16_e32 v48, v13, v38
	v_sub_f16_e32 v51, v52, v54
	;; [unrolled: 1-line block ×3, first 2 shown]
	v_fma_f16 v44, v45, s5, v44
	v_fma_f16 v46, v48, s2, v46
	v_add_f16_e32 v51, v51, v87
	v_fma_f16 v44, v48, s14, v44
	v_fma_f16 v46, v51, s4, v46
	;; [unrolled: 1-line block ×3, first 2 shown]
	v_add_f16_e32 v51, v52, v79
	v_lshrrev_b32_e32 v53, 16, v6
	v_fma_f16 v11, v11, s4, v43
	v_add_f16_e32 v43, v6, v52
	v_fma_f16 v6, v51, -0.5, v6
	v_add_f16_e32 v43, v43, v54
	v_fma_f16 v51, v48, s5, v6
	v_fma_f16 v6, v48, s3, v6
	v_add_f16_e32 v48, v13, v38
	v_add_f16_e32 v43, v43, v78
	v_sub_f16_e32 v87, v54, v52
	v_sub_f16_e32 v88, v78, v79
	v_fma_f16 v48, v48, -0.5, v53
	v_sub_f16_e32 v52, v52, v79
	v_add_f16_e32 v43, v43, v79
	v_fma_f16 v51, v45, s2, v51
	v_add_f16_e32 v87, v87, v88
	v_fma_f16 v6, v45, s14, v6
	v_fma_f16 v79, v52, s5, v48
	v_sub_f16_e32 v54, v54, v78
	v_fma_f16 v51, v87, s4, v51
	v_fma_f16 v6, v87, s4, v6
	;; [unrolled: 1-line block ×3, first 2 shown]
	v_sub_f16_e32 v79, v36, v13
	v_sub_f16_e32 v87, v50, v38
	v_fma_f16 v48, v52, s3, v48
	v_add_f16_e32 v45, v53, v36
	v_add_f16_e32 v79, v79, v87
	v_fma_f16 v48, v54, s2, v48
	v_add_f16_e32 v45, v45, v13
	v_fma_f16 v78, v79, s4, v78
	v_fma_f16 v48, v79, s4, v48
	v_add_f16_e32 v79, v36, v50
	v_add_f16_e32 v45, v45, v38
	v_fma_f16 v53, v79, -0.5, v53
	v_add_f16_e32 v45, v45, v50
	v_fma_f16 v79, v54, s3, v53
	v_sub_f16_e32 v13, v13, v36
	v_sub_f16_e32 v36, v38, v50
	v_fma_f16 v38, v54, s5, v53
	v_add_f16_e32 v50, v37, v32
	v_fma_f16 v79, v52, s14, v79
	v_add_f16_e32 v13, v13, v36
	v_fma_f16 v38, v52, s2, v38
	v_fma_f16 v50, v50, -0.5, v7
	v_sub_f16_e32 v52, v2, v5
	v_fma_f16 v36, v13, s4, v79
	v_fma_f16 v53, v52, s3, v50
	v_sub_f16_e32 v54, v3, v4
	v_sub_f16_e32 v79, v80, v37
	;; [unrolled: 1-line block ×3, first 2 shown]
	v_fma_f16 v50, v52, s5, v50
	v_fma_f16 v53, v54, s2, v53
	v_add_f16_e32 v79, v79, v87
	v_fma_f16 v50, v54, s14, v50
	v_fma_f16 v13, v13, s4, v38
	v_add_f16_e32 v38, v7, v80
	v_fma_f16 v53, v79, s4, v53
	v_fma_f16 v50, v79, s4, v50
	v_add_f16_e32 v79, v80, v39
	v_lshrrev_b32_e32 v1, 16, v7
	v_add_f16_e32 v38, v38, v37
	v_fma_f16 v7, v79, -0.5, v7
	v_add_f16_e32 v38, v38, v32
	v_fma_f16 v79, v54, s5, v7
	v_fma_f16 v7, v54, s3, v7
	v_add_f16_e32 v54, v3, v4
	v_add_f16_e32 v38, v38, v39
	v_sub_f16_e32 v87, v37, v80
	v_sub_f16_e32 v88, v32, v39
	v_fma_f16 v54, v54, -0.5, v1
	v_sub_f16_e32 v39, v80, v39
	v_fma_f16 v79, v52, s2, v79
	v_add_f16_e32 v87, v87, v88
	v_fma_f16 v7, v52, s14, v7
	v_fma_f16 v80, v39, s5, v54
	v_sub_f16_e32 v32, v37, v32
	v_fma_f16 v79, v87, s4, v79
	v_fma_f16 v7, v87, s4, v7
	;; [unrolled: 1-line block ×3, first 2 shown]
	v_sub_f16_e32 v80, v2, v3
	v_sub_f16_e32 v87, v5, v4
	v_fma_f16 v54, v39, s3, v54
	v_add_f16_e32 v80, v80, v87
	v_fma_f16 v54, v32, s2, v54
	v_fma_f16 v37, v80, s4, v37
	;; [unrolled: 1-line block ×3, first 2 shown]
	v_add_f16_e32 v80, v2, v5
	v_add_f16_e32 v52, v1, v2
	v_fma_f16 v1, v80, -0.5, v1
	v_add_f16_e32 v52, v52, v3
	v_fma_f16 v80, v32, s3, v1
	v_sub_f16_e32 v2, v3, v2
	v_sub_f16_e32 v3, v4, v5
	v_fma_f16 v1, v32, s5, v1
	v_fma_f16 v80, v39, s14, v80
	v_add_f16_e32 v2, v2, v3
	v_fma_f16 v1, v39, s2, v1
	v_add_f16_e32 v52, v52, v4
	v_fma_f16 v3, v2, s4, v80
	v_fma_f16 v1, v2, s4, v1
	v_pack_b32_f16 v2, v47, v82
	v_pack_b32_f16 v4, v83, v41
	s_barrier
	ds_write2st64_b32 v57, v2, v4 offset1:8
	v_pack_b32_f16 v2, v86, v12
	v_pack_b32_f16 v4, v8, v10
	ds_write2st64_b32 v57, v2, v4 offset0:16 offset1:24
	v_pack_b32_f16 v2, v81, v84
	v_pack_b32_f16 v4, v14, v34
	ds_write2st64_b32 v57, v2, v4 offset0:32 offset1:40
	;; [unrolled: 3-line block ×3, first 2 shown]
	v_pack_b32_f16 v4, v33, v42
	v_pack_b32_f16 v2, v9, v11
	ds_write_b32 v98, v4
	v_pack_b32_f16 v4, v43, v45
	ds_write2st64_b32 v57, v2, v4 offset0:64 offset1:80
	v_pack_b32_f16 v2, v46, v78
	v_pack_b32_f16 v4, v51, v36
	v_add_f16_e32 v52, v52, v5
	ds_write2st64_b32 v57, v2, v4 offset0:88 offset1:96
	v_pack_b32_f16 v2, v6, v13
	ds_write_b32 v99, v2
	v_pack_b32_f16 v2, v44, v48
	v_pack_b32_f16 v4, v38, v52
	;; [unrolled: 1-line block ×3, first 2 shown]
	ds_write2st64_b32 v57, v2, v4 offset0:112 offset1:120
	v_pack_b32_f16 v2, v53, v37
	v_pack_b32_f16 v3, v79, v3
	ds_write_b32 v57, v1 offset:36864
	v_pack_b32_f16 v1, v50, v54
	ds_write2st64_b32 v57, v2, v3 offset0:128 offset1:136
	ds_write_b32 v31, v1
	s_waitcnt lgkmcnt(0)
	s_barrier
	ds_read2st64_b32 v[1:2], v57 offset1:8
	ds_read2st64_b32 v[3:4], v57 offset0:32 offset1:40
	ds_read2st64_b32 v[5:6], v57 offset0:64 offset1:80
	;; [unrolled: 1-line block ×7, first 2 shown]
	ds_read_b32 v45, v98
	ds_read_b32 v46, v31
	;; [unrolled: 1-line block ×3, first 2 shown]
	ds_read_b32 v48, v57 offset:36864
	s_waitcnt lgkmcnt(10)
	v_lshrrev_b32_e32 v35, 16, v4
	v_mul_f16_sdwa v81, v15, v35 dst_sel:DWORD dst_unused:UNUSED_PAD src0_sel:WORD_1 src1_sel:DWORD
	s_waitcnt lgkmcnt(9)
	v_lshrrev_b32_e32 v36, 16, v6
	v_fma_f16 v81, v15, v4, v81
	v_mul_f16_sdwa v4, v15, v4 dst_sel:DWORD dst_unused:UNUSED_PAD src0_sel:WORD_1 src1_sel:DWORD
	v_fma_f16 v4, v15, v35, -v4
	v_mul_f16_sdwa v15, v16, v36 dst_sel:DWORD dst_unused:UNUSED_PAD src0_sel:WORD_1 src1_sel:DWORD
	s_waitcnt lgkmcnt(8)
	v_lshrrev_b32_e32 v37, 16, v8
	v_fma_f16 v15, v16, v6, v15
	v_mul_f16_sdwa v6, v16, v6 dst_sel:DWORD dst_unused:UNUSED_PAD src0_sel:WORD_1 src1_sel:DWORD
	v_fma_f16 v6, v16, v36, -v6
	;; [unrolled: 6-line block ×5, first 2 shown]
	v_mul_f16_sdwa v19, v20, v41 dst_sel:DWORD dst_unused:UNUSED_PAD src0_sel:WORD_1 src1_sel:DWORD
	v_lshrrev_b32_e32 v43, 16, v10
	v_fma_f16 v19, v20, v13, v19
	v_mul_f16_sdwa v13, v20, v13 dst_sel:DWORD dst_unused:UNUSED_PAD src0_sel:WORD_1 src1_sel:DWORD
	v_fma_f16 v13, v20, v41, -v13
	v_mul_f16_sdwa v20, v21, v43 dst_sel:DWORD dst_unused:UNUSED_PAD src0_sel:WORD_1 src1_sel:DWORD
	v_lshrrev_b32_e32 v44, 16, v12
	v_fma_f16 v20, v21, v10, v20
	v_mul_f16_sdwa v10, v21, v10 dst_sel:DWORD dst_unused:UNUSED_PAD src0_sel:WORD_1 src1_sel:DWORD
	v_fma_f16 v10, v21, v43, -v10
	;; [unrolled: 5-line block ×4, first 2 shown]
	v_mul_f16_sdwa v23, v24, v51 dst_sel:DWORD dst_unused:UNUSED_PAD src0_sel:WORD_1 src1_sel:DWORD
	s_waitcnt lgkmcnt(1)
	v_lshrrev_b32_e32 v52, 16, v47
	v_fma_f16 v23, v24, v5, v23
	v_mul_f16_sdwa v5, v24, v5 dst_sel:DWORD dst_unused:UNUSED_PAD src0_sel:WORD_1 src1_sel:DWORD
	s_waitcnt lgkmcnt(0)
	v_lshrrev_b32_e32 v53, 16, v48
	v_fma_f16 v5, v24, v51, -v5
	v_mul_f16_sdwa v24, v25, v52 dst_sel:DWORD dst_unused:UNUSED_PAD src0_sel:WORD_1 src1_sel:DWORD
	v_mul_f16_sdwa v35, v25, v47 dst_sel:DWORD dst_unused:UNUSED_PAD src0_sel:WORD_1 src1_sel:DWORD
	v_lshrrev_b32_e32 v78, 16, v45
	v_fma_f16 v24, v25, v47, v24
	v_fma_f16 v25, v25, v52, -v35
	v_mul_f16_sdwa v35, v26, v53 dst_sel:DWORD dst_unused:UNUSED_PAD src0_sel:WORD_1 src1_sel:DWORD
	v_mul_f16_sdwa v36, v26, v48 dst_sel:DWORD dst_unused:UNUSED_PAD src0_sel:WORD_1 src1_sel:DWORD
	v_lshrrev_b32_e32 v79, 16, v7
	v_fma_f16 v35, v26, v48, v35
	v_fma_f16 v26, v26, v53, -v36
	v_mul_f16_sdwa v36, v27, v78 dst_sel:DWORD dst_unused:UNUSED_PAD src0_sel:WORD_1 src1_sel:DWORD
	v_mul_f16_sdwa v37, v27, v45 dst_sel:DWORD dst_unused:UNUSED_PAD src0_sel:WORD_1 src1_sel:DWORD
	v_fma_f16 v36, v27, v45, v36
	v_fma_f16 v27, v27, v78, -v37
	v_mul_f16_sdwa v37, v28, v79 dst_sel:DWORD dst_unused:UNUSED_PAD src0_sel:WORD_1 src1_sel:DWORD
	v_lshrrev_b32_e32 v34, 16, v1
	v_lshrrev_b32_e32 v38, 16, v2
	;; [unrolled: 1-line block ×3, first 2 shown]
	v_fma_f16 v37, v28, v7, v37
	v_mul_f16_sdwa v7, v28, v7 dst_sel:DWORD dst_unused:UNUSED_PAD src0_sel:WORD_1 src1_sel:DWORD
	v_fma_f16 v7, v28, v79, -v7
	v_mul_f16_sdwa v28, v29, v80 dst_sel:DWORD dst_unused:UNUSED_PAD src0_sel:WORD_1 src1_sel:DWORD
	v_mul_f16_sdwa v39, v29, v46 dst_sel:DWORD dst_unused:UNUSED_PAD src0_sel:WORD_1 src1_sel:DWORD
	v_sub_f16_e32 v15, v1, v15
	v_sub_f16_e32 v6, v34, v6
	;; [unrolled: 1-line block ×8, first 2 shown]
	v_lshrrev_b32_e32 v42, 16, v32
	v_fma_f16 v28, v29, v46, v28
	v_fma_f16 v29, v29, v80, -v39
	v_fma_f16 v1, v1, 2.0, -v15
	v_fma_f16 v34, v34, 2.0, -v6
	v_fma_f16 v39, v81, 2.0, -v16
	v_fma_f16 v4, v4, 2.0, -v8
	v_fma_f16 v2, v2, 2.0, -v18
	v_fma_f16 v38, v38, 2.0, -v11
	v_fma_f16 v17, v17, 2.0, -v19
	v_fma_f16 v9, v9, 2.0, -v13
	v_sub_f16_e32 v39, v1, v39
	v_sub_f16_e32 v4, v34, v4
	;; [unrolled: 1-line block ×8, first 2 shown]
	v_lshrrev_b32_e32 v50, 16, v33
	v_fma_f16 v1, v1, 2.0, -v39
	v_fma_f16 v34, v34, 2.0, -v4
	;; [unrolled: 1-line block ×4, first 2 shown]
	v_add_f16_e32 v13, v18, v13
	v_sub_f16_e32 v19, v11, v19
	v_fma_f16 v20, v20, 2.0, -v22
	v_fma_f16 v10, v10, 2.0, -v14
	v_add_f16_e32 v14, v21, v14
	v_sub_f16_e32 v22, v12, v22
	v_fma_f16 v18, v18, 2.0, -v13
	v_fma_f16 v11, v11, 2.0, -v19
	;; [unrolled: 1-line block ×6, first 2 shown]
	v_sub_f16_e32 v24, v33, v24
	v_sub_f16_e32 v25, v50, v25
	;; [unrolled: 1-line block ×4, first 2 shown]
	v_pack_b32_f16 v1, v1, v34
	v_pack_b32_f16 v2, v2, v38
	v_sub_f16_e32 v20, v32, v20
	v_sub_f16_e32 v10, v40, v10
	v_fma_f16 v33, v33, 2.0, -v24
	v_fma_f16 v41, v50, 2.0, -v25
	;; [unrolled: 1-line block ×4, first 2 shown]
	ds_write2st64_b32 v57, v1, v2 offset1:8
	v_pack_b32_f16 v1, v18, v11
	v_pack_b32_f16 v12, v21, v12
	v_sub_f16_e32 v23, v33, v23
	v_sub_f16_e32 v5, v41, v5
	v_pack_b32_f16 v2, v17, v9
	ds_write2st64_b32 v57, v1, v12 offset0:48 offset1:56
	v_pack_b32_f16 v1, v20, v10
	v_lshrrev_b32_e32 v54, 16, v3
	v_fma_f16 v32, v32, 2.0, -v20
	v_fma_f16 v40, v40, 2.0, -v10
	;; [unrolled: 1-line block ×4, first 2 shown]
	v_add_f16_e32 v26, v24, v26
	v_sub_f16_e32 v35, v25, v35
	v_pack_b32_f16 v9, v13, v19
	ds_write2st64_b32 v57, v2, v1 offset0:88 offset1:96
	v_pack_b32_f16 v1, v14, v22
	v_fma_f16 v24, v24, 2.0, -v26
	v_fma_f16 v25, v25, 2.0, -v35
	v_sub_f16_e32 v37, v3, v37
	v_sub_f16_e32 v7, v54, v7
	;; [unrolled: 1-line block ×4, first 2 shown]
	v_pack_b32_f16 v11, v32, v40
	ds_write2st64_b32 v57, v9, v1 offset0:128 offset1:136
	v_pack_b32_f16 v1, v33, v41
	v_fma_f16 v3, v3, 2.0, -v37
	v_fma_f16 v42, v54, 2.0, -v7
	;; [unrolled: 1-line block ×4, first 2 shown]
	v_pack_b32_f16 v4, v39, v4
	ds_write2st64_b32 v57, v11, v1 offset0:16 offset1:24
	v_pack_b32_f16 v1, v24, v25
	v_add_f16_e32 v8, v15, v8
	v_sub_f16_e32 v16, v6, v16
	v_sub_f16_e32 v36, v3, v36
	;; [unrolled: 1-line block ×3, first 2 shown]
	ds_write2st64_b32 v57, v1, v4 offset0:64 offset1:80
	v_pack_b32_f16 v1, v23, v5
	v_fma_f16 v15, v15, 2.0, -v8
	v_fma_f16 v6, v6, 2.0, -v16
	;; [unrolled: 1-line block ×4, first 2 shown]
	v_add_f16_e32 v29, v37, v29
	v_sub_f16_e32 v28, v7, v28
	ds_write_b32 v99, v1
	v_pack_b32_f16 v1, v26, v35
	v_fma_f16 v37, v37, 2.0, -v29
	v_fma_f16 v7, v7, 2.0, -v28
	v_pack_b32_f16 v6, v15, v6
	ds_write_b32 v57, v1 offset:36864
	v_pack_b32_f16 v1, v3, v42
	ds_write2st64_b32 v57, v1, v6 offset0:32 offset1:40
	v_pack_b32_f16 v1, v37, v7
	v_pack_b32_f16 v8, v8, v16
	ds_write_b32 v98, v1
	v_pack_b32_f16 v1, v36, v27
	ds_write2st64_b32 v57, v1, v8 offset0:112 offset1:120
	v_pack_b32_f16 v1, v29, v28
	ds_write_b32 v31, v1
	s_waitcnt lgkmcnt(0)
	s_barrier
	ds_read2st64_b32 v[1:2], v57 offset1:8
	s_mov_b32 s14, 0x9999999a
	s_mov_b32 s15, 0x3f199999
	v_mad_u64_u32 v[5:6], s[2:3], s10, v30, 0
	s_waitcnt lgkmcnt(0)
	v_lshrrev_b32_e32 v8, 16, v1
	v_mul_f16_sdwa v3, v75, v8 dst_sel:DWORD dst_unused:UNUSED_PAD src0_sel:WORD_1 src1_sel:DWORD
	v_fma_f16 v3, v75, v1, v3
	v_cvt_f32_f16_e32 v3, v3
	s_movk_i32 s19, 0x1ff
	v_mad_u64_u32 v[6:7], s[2:3], s11, v30, v[6:7]
	v_cvt_f64_f32_e32 v[3:4], v3
	s_movk_i32 s16, 0xffe
	v_mul_f16_sdwa v1, v75, v1 dst_sel:DWORD dst_unused:UNUSED_PAD src0_sel:WORD_1 src1_sel:DWORD
	v_fma_f16 v1, v75, v8, -v1
	v_mul_f64 v[3:4], v[3:4], s[14:15]
	v_cvt_f32_f16_e32 v1, v1
	v_mov_b32_e32 v15, 0x7c00
	s_movk_i32 s17, 0x40f
	s_mov_b32 s18, 0x8000
	v_lshlrev_b64 v[5:6], 2, v[5:6]
	v_and_or_b32 v3, v4, s19, v3
	v_cmp_ne_u32_e32 vcc, 0, v3
	v_cndmask_b32_e64 v3, 0, 1, vcc
	v_lshrrev_b32_e32 v7, 8, v4
	v_bfe_u32 v9, v4, 20, 11
	v_and_or_b32 v3, v7, s16, v3
	v_sub_u32_e32 v10, 0x3f1, v9
	v_or_b32_e32 v7, 0x1000, v3
	v_med3_i32 v10, v10, 0, 13
	v_lshrrev_b32_e32 v11, v10, v7
	v_lshlrev_b32_e32 v10, v10, v11
	v_cmp_ne_u32_e32 vcc, v10, v7
	v_cndmask_b32_e64 v7, 0, 1, vcc
	v_add_u32_e32 v9, 0xfffffc10, v9
	v_or_b32_e32 v7, v11, v7
	v_lshl_or_b32 v10, v9, 12, v3
	v_cmp_gt_i32_e32 vcc, 1, v9
	v_cndmask_b32_e32 v7, v10, v7, vcc
	v_and_b32_e32 v10, 7, v7
	v_cmp_lt_i32_e32 vcc, 5, v10
	v_cmp_eq_u32_e64 s[2:3], 3, v10
	v_lshrrev_b32_e32 v7, 2, v7
	s_or_b64 vcc, s[2:3], vcc
	v_addc_co_u32_e32 v10, vcc, 0, v7, vcc
	v_cvt_f64_f32_e32 v[7:8], v1
	v_cmp_gt_i32_e32 vcc, 31, v9
	v_cndmask_b32_e32 v1, v15, v10, vcc
	v_cmp_ne_u32_e32 vcc, 0, v3
	v_mul_f64 v[7:8], v[7:8], s[14:15]
	v_cndmask_b32_e64 v3, 0, 1, vcc
	v_lshl_or_b32 v3, v3, 9, v15
	v_cmp_eq_u32_e32 vcc, s17, v9
	v_cndmask_b32_e32 v1, v1, v3, vcc
	v_lshrrev_b32_e32 v3, 16, v4
	v_and_or_b32 v11, v3, s18, v1
	v_and_or_b32 v1, v8, s19, v7
	v_cmp_ne_u32_e32 vcc, 0, v1
	v_cndmask_b32_e64 v1, 0, 1, vcc
	v_lshrrev_b32_e32 v3, 8, v8
	v_bfe_u32 v4, v8, 20, 11
	v_and_or_b32 v1, v3, s16, v1
	v_sub_u32_e32 v7, 0x3f1, v4
	v_or_b32_e32 v3, 0x1000, v1
	v_med3_i32 v7, v7, 0, 13
	v_lshrrev_b32_e32 v9, v7, v3
	v_lshlrev_b32_e32 v7, v7, v9
	v_cmp_ne_u32_e32 vcc, v7, v3
	v_cndmask_b32_e64 v3, 0, 1, vcc
	v_add_u32_e32 v4, 0xfffffc10, v4
	v_or_b32_e32 v3, v9, v3
	v_lshl_or_b32 v7, v4, 12, v1
	v_cmp_gt_i32_e32 vcc, 1, v4
	v_cndmask_b32_e32 v3, v7, v3, vcc
	v_and_b32_e32 v7, 7, v3
	v_cmp_lt_i32_e32 vcc, 5, v7
	v_cmp_eq_u32_e64 s[2:3], 3, v7
	v_lshrrev_b32_e32 v3, 2, v3
	s_or_b64 vcc, s[2:3], vcc
	v_addc_co_u32_e32 v3, vcc, 0, v3, vcc
	v_cmp_gt_i32_e32 vcc, 31, v4
	v_cndmask_b32_e32 v3, v15, v3, vcc
	v_cmp_ne_u32_e32 vcc, 0, v1
	v_cndmask_b32_e64 v1, 0, 1, vcc
	v_lshl_or_b32 v1, v1, 9, v15
	v_cmp_eq_u32_e32 vcc, s17, v4
	v_mad_u64_u32 v[9:10], s[2:3], s8, v0, 0
	v_cndmask_b32_e32 v7, v3, v1, vcc
	ds_read2st64_b32 v[3:4], v57 offset0:20 offset1:28
	v_mov_b32_e32 v1, v10
	v_mad_u64_u32 v[0:1], s[2:3], s9, v0, v[1:2]
	v_lshrrev_b32_e32 v8, 16, v8
	s_waitcnt lgkmcnt(0)
	v_lshrrev_b32_e32 v12, 16, v3
	v_mul_f16_sdwa v1, v73, v12 dst_sel:DWORD dst_unused:UNUSED_PAD src0_sel:WORD_1 src1_sel:DWORD
	v_fma_f16 v1, v73, v3, v1
	v_cvt_f32_f16_e32 v1, v1
	v_mov_b32_e32 v10, v0
	v_and_or_b32 v7, v8, s18, v7
	v_and_b32_e32 v8, 0xffff, v11
	v_cvt_f64_f32_e32 v[0:1], v1
	v_lshl_or_b32 v7, v7, 16, v8
	v_mov_b32_e32 v8, s13
	v_add_co_u32_e32 v11, vcc, s12, v5
	v_mul_f64 v[0:1], v[0:1], s[14:15]
	v_addc_co_u32_e32 v8, vcc, v8, v6, vcc
	v_lshlrev_b64 v[5:6], 2, v[9:10]
	v_mul_f16_sdwa v3, v73, v3 dst_sel:DWORD dst_unused:UNUSED_PAD src0_sel:WORD_1 src1_sel:DWORD
	v_add_co_u32_e32 v5, vcc, v11, v5
	v_addc_co_u32_e32 v6, vcc, v8, v6, vcc
	v_and_or_b32 v0, v1, s19, v0
	v_cmp_ne_u32_e32 vcc, 0, v0
	global_store_dword v[5:6], v7, off
	v_cndmask_b32_e64 v0, 0, 1, vcc
	v_lshrrev_b32_e32 v7, 8, v1
	v_bfe_u32 v8, v1, 20, 11
	v_and_or_b32 v0, v7, s16, v0
	v_sub_u32_e32 v9, 0x3f1, v8
	v_or_b32_e32 v7, 0x1000, v0
	v_med3_i32 v9, v9, 0, 13
	v_lshrrev_b32_e32 v10, v9, v7
	v_lshlrev_b32_e32 v9, v9, v10
	v_cmp_ne_u32_e32 vcc, v9, v7
	v_fma_f16 v3, v73, v12, -v3
	v_cndmask_b32_e64 v7, 0, 1, vcc
	v_add_u32_e32 v9, 0xfffffc10, v8
	v_cvt_f32_f16_e32 v3, v3
	v_or_b32_e32 v7, v10, v7
	v_lshl_or_b32 v8, v9, 12, v0
	v_cmp_gt_i32_e32 vcc, 1, v9
	v_cndmask_b32_e32 v7, v8, v7, vcc
	v_and_b32_e32 v8, 7, v7
	v_cmp_lt_i32_e32 vcc, 5, v8
	v_cmp_eq_u32_e64 s[2:3], 3, v8
	v_lshrrev_b32_e32 v10, 2, v7
	v_cvt_f64_f32_e32 v[7:8], v3
	s_or_b64 vcc, s[2:3], vcc
	v_addc_co_u32_e32 v3, vcc, 0, v10, vcc
	v_mul_f64 v[7:8], v[7:8], s[14:15]
	v_cmp_gt_i32_e32 vcc, 31, v9
	v_cndmask_b32_e32 v3, v15, v3, vcc
	v_cmp_ne_u32_e32 vcc, 0, v0
	v_cndmask_b32_e64 v0, 0, 1, vcc
	v_lshl_or_b32 v0, v0, 9, v15
	v_cmp_eq_u32_e32 vcc, s17, v9
	v_cndmask_b32_e32 v0, v3, v0, vcc
	v_lshrrev_b32_e32 v1, 16, v1
	v_and_or_b32 v3, v1, s18, v0
	v_and_or_b32 v0, v8, s19, v7
	v_cmp_ne_u32_e32 vcc, 0, v0
	v_cndmask_b32_e64 v0, 0, 1, vcc
	v_lshrrev_b32_e32 v1, 8, v8
	v_bfe_u32 v7, v8, 20, 11
	v_and_or_b32 v0, v1, s16, v0
	v_sub_u32_e32 v9, 0x3f1, v7
	v_or_b32_e32 v1, 0x1000, v0
	v_med3_i32 v9, v9, 0, 13
	v_lshrrev_b32_e32 v10, v9, v1
	v_lshlrev_b32_e32 v9, v9, v10
	v_cmp_ne_u32_e32 vcc, v9, v1
	v_cndmask_b32_e64 v1, 0, 1, vcc
	v_add_u32_e32 v7, 0xfffffc10, v7
	v_or_b32_e32 v1, v10, v1
	v_lshl_or_b32 v9, v7, 12, v0
	v_cmp_gt_i32_e32 vcc, 1, v7
	v_cndmask_b32_e32 v1, v9, v1, vcc
	v_and_b32_e32 v9, 7, v1
	v_cmp_lt_i32_e32 vcc, 5, v9
	v_cmp_eq_u32_e64 s[2:3], 3, v9
	v_lshrrev_b32_e32 v1, 2, v1
	s_or_b64 vcc, s[2:3], vcc
	v_addc_co_u32_e32 v1, vcc, 0, v1, vcc
	v_cmp_gt_i32_e32 vcc, 31, v7
	v_cndmask_b32_e32 v9, v15, v1, vcc
	v_cmp_ne_u32_e32 vcc, 0, v0
	v_cndmask_b32_e64 v0, 0, 1, vcc
	v_lshl_or_b32 v10, v0, 9, v15
	ds_read2st64_b32 v[0:1], v57 offset0:40 offset1:48
	v_cmp_eq_u32_e32 vcc, s17, v7
	v_cndmask_b32_e32 v7, v9, v10, vcc
	v_lshrrev_b32_e32 v8, 16, v8
	v_and_or_b32 v9, v8, s18, v7
	s_waitcnt lgkmcnt(0)
	v_lshrrev_b32_e32 v11, 16, v0
	v_mul_f16_sdwa v7, v72, v11 dst_sel:DWORD dst_unused:UNUSED_PAD src0_sel:WORD_1 src1_sel:DWORD
	v_fma_f16 v7, v72, v0, v7
	v_cvt_f32_f16_e32 v7, v7
	s_mul_i32 s2, s9, 0x500
	s_mul_hi_u32 s3, s8, 0x500
	s_add_i32 s3, s3, s2
	v_cvt_f64_f32_e32 v[7:8], v7
	s_mul_i32 s2, s8, 0x500
	v_and_b32_e32 v3, 0xffff, v3
	s_lshl_b64 s[10:11], s[2:3], 2
	v_mul_f64 v[7:8], v[7:8], s[14:15]
	v_lshl_or_b32 v12, v9, 16, v3
	v_mov_b32_e32 v3, s11
	v_add_co_u32_e32 v9, vcc, s10, v5
	v_addc_co_u32_e32 v10, vcc, v6, v3, vcc
	global_store_dword v[9:10], v12, off
	v_and_or_b32 v5, v8, s19, v7
	v_cmp_ne_u32_e32 vcc, 0, v5
	v_cndmask_b32_e64 v5, 0, 1, vcc
	v_lshrrev_b32_e32 v6, 8, v8
	v_and_or_b32 v12, v6, s16, v5
	v_bfe_u32 v6, v8, 20, 11
	v_sub_u32_e32 v7, 0x3f1, v6
	v_or_b32_e32 v5, 0x1000, v12
	v_med3_i32 v7, v7, 0, 13
	v_lshrrev_b32_e32 v13, v7, v5
	v_lshlrev_b32_e32 v7, v7, v13
	v_cmp_ne_u32_e32 vcc, v7, v5
	v_mul_f16_sdwa v0, v72, v0 dst_sel:DWORD dst_unused:UNUSED_PAD src0_sel:WORD_1 src1_sel:DWORD
	v_cndmask_b32_e64 v5, 0, 1, vcc
	v_fma_f16 v0, v72, v11, -v0
	v_or_b32_e32 v5, v13, v5
	v_add_u32_e32 v13, 0xfffffc10, v6
	v_cvt_f32_f16_e32 v0, v0
	v_lshl_or_b32 v6, v13, 12, v12
	v_cmp_gt_i32_e32 vcc, 1, v13
	v_cndmask_b32_e32 v5, v6, v5, vcc
	v_and_b32_e32 v6, 7, v5
	v_cmp_lt_i32_e32 vcc, 5, v6
	v_cmp_eq_u32_e64 s[2:3], 3, v6
	v_lshrrev_b32_e32 v7, 2, v5
	v_cvt_f64_f32_e32 v[5:6], v0
	s_or_b64 vcc, s[2:3], vcc
	v_addc_co_u32_e32 v0, vcc, 0, v7, vcc
	v_mul_f64 v[6:7], v[5:6], s[14:15]
	v_cmp_gt_i32_e32 vcc, 31, v13
	v_cndmask_b32_e32 v0, v15, v0, vcc
	v_cmp_ne_u32_e32 vcc, 0, v12
	v_cndmask_b32_e64 v5, 0, 1, vcc
	v_lshl_or_b32 v5, v5, 9, v15
	v_cmp_eq_u32_e32 vcc, s17, v13
	v_cndmask_b32_e32 v0, v0, v5, vcc
	v_lshrrev_b32_e32 v5, 16, v8
	v_and_or_b32 v0, v5, s18, v0
	v_and_or_b32 v5, v7, s19, v6
	v_cmp_ne_u32_e32 vcc, 0, v5
	v_cndmask_b32_e64 v5, 0, 1, vcc
	v_lshrrev_b32_e32 v6, 8, v7
	v_and_or_b32 v8, v6, s16, v5
	v_bfe_u32 v6, v7, 20, 11
	v_sub_u32_e32 v11, 0x3f1, v6
	v_or_b32_e32 v5, 0x1000, v8
	v_med3_i32 v11, v11, 0, 13
	v_lshrrev_b32_e32 v12, v11, v5
	v_lshlrev_b32_e32 v11, v11, v12
	v_cmp_ne_u32_e32 vcc, v11, v5
	v_cndmask_b32_e64 v5, 0, 1, vcc
	v_add_u32_e32 v13, 0xfffffc10, v6
	v_or_b32_e32 v5, v12, v5
	v_lshl_or_b32 v6, v13, 12, v8
	v_cmp_gt_i32_e32 vcc, 1, v13
	v_cndmask_b32_e32 v5, v6, v5, vcc
	v_and_b32_e32 v6, 7, v5
	v_cmp_lt_i32_e32 vcc, 5, v6
	v_cmp_eq_u32_e64 s[2:3], 3, v6
	v_lshrrev_b32_e32 v11, 2, v5
	ds_read2st64_b32 v[5:6], v57 offset0:60 offset1:68
	s_or_b64 vcc, s[2:3], vcc
	v_addc_co_u32_e32 v11, vcc, 0, v11, vcc
	v_cmp_gt_i32_e32 vcc, 31, v13
	s_waitcnt lgkmcnt(0)
	v_lshrrev_b32_e32 v16, 16, v5
	v_cndmask_b32_e32 v14, v15, v11, vcc
	v_mul_f16_sdwa v11, v71, v16 dst_sel:DWORD dst_unused:UNUSED_PAD src0_sel:WORD_1 src1_sel:DWORD
	v_fma_f16 v11, v71, v5, v11
	v_cvt_f32_f16_e32 v11, v11
	v_cmp_ne_u32_e32 vcc, 0, v8
	v_cndmask_b32_e64 v8, 0, 1, vcc
	v_lshl_or_b32 v8, v8, 9, v15
	v_cvt_f64_f32_e32 v[11:12], v11
	v_cmp_eq_u32_e32 vcc, s17, v13
	v_cndmask_b32_e32 v8, v14, v8, vcc
	v_lshrrev_b32_e32 v7, 16, v7
	v_and_or_b32 v13, v7, s18, v8
	v_mul_f64 v[7:8], v[11:12], s[14:15]
	v_and_b32_e32 v0, 0xffff, v0
	v_add_co_u32_e32 v9, vcc, s10, v9
	v_lshl_or_b32 v0, v13, 16, v0
	v_addc_co_u32_e32 v10, vcc, v10, v3, vcc
	global_store_dword v[9:10], v0, off
	v_and_or_b32 v0, v8, s19, v7
	v_cmp_ne_u32_e32 vcc, 0, v0
	v_cndmask_b32_e64 v0, 0, 1, vcc
	v_lshrrev_b32_e32 v7, 8, v8
	v_bfe_u32 v11, v8, 20, 11
	v_and_or_b32 v0, v7, s16, v0
	v_sub_u32_e32 v12, 0x3f1, v11
	v_or_b32_e32 v7, 0x1000, v0
	v_med3_i32 v12, v12, 0, 13
	v_lshrrev_b32_e32 v13, v12, v7
	v_lshlrev_b32_e32 v12, v12, v13
	v_cmp_ne_u32_e32 vcc, v12, v7
	v_mul_f16_sdwa v5, v71, v5 dst_sel:DWORD dst_unused:UNUSED_PAD src0_sel:WORD_1 src1_sel:DWORD
	v_cndmask_b32_e64 v7, 0, 1, vcc
	v_fma_f16 v5, v71, v16, -v5
	v_or_b32_e32 v7, v13, v7
	v_add_u32_e32 v13, 0xfffffc10, v11
	v_cvt_f32_f16_e32 v5, v5
	v_lshl_or_b32 v11, v13, 12, v0
	v_cmp_gt_i32_e32 vcc, 1, v13
	v_cndmask_b32_e32 v7, v11, v7, vcc
	v_and_b32_e32 v11, 7, v7
	v_cmp_lt_i32_e32 vcc, 5, v11
	v_cmp_eq_u32_e64 s[2:3], 3, v11
	v_cvt_f64_f32_e32 v[11:12], v5
	v_lshrrev_b32_e32 v7, 2, v7
	s_or_b64 vcc, s[2:3], vcc
	v_addc_co_u32_e32 v5, vcc, 0, v7, vcc
	v_mul_f64 v[11:12], v[11:12], s[14:15]
	v_cmp_gt_i32_e32 vcc, 31, v13
	v_cndmask_b32_e32 v5, v15, v5, vcc
	v_cmp_ne_u32_e32 vcc, 0, v0
	v_cndmask_b32_e64 v0, 0, 1, vcc
	v_lshl_or_b32 v0, v0, 9, v15
	v_cmp_eq_u32_e32 vcc, s17, v13
	v_cndmask_b32_e32 v0, v5, v0, vcc
	v_lshrrev_b32_e32 v5, 16, v8
	v_and_or_b32 v0, v5, s18, v0
	v_and_or_b32 v5, v12, s19, v11
	v_cmp_ne_u32_e32 vcc, 0, v5
	v_cndmask_b32_e64 v5, 0, 1, vcc
	v_lshrrev_b32_e32 v7, 8, v12
	v_bfe_u32 v8, v12, 20, 11
	v_and_or_b32 v5, v7, s16, v5
	v_sub_u32_e32 v11, 0x3f1, v8
	v_or_b32_e32 v7, 0x1000, v5
	v_med3_i32 v11, v11, 0, 13
	v_lshrrev_b32_e32 v13, v11, v7
	v_lshlrev_b32_e32 v11, v11, v13
	v_cmp_ne_u32_e32 vcc, v11, v7
	v_cndmask_b32_e64 v7, 0, 1, vcc
	v_add_u32_e32 v11, 0xfffffc10, v8
	v_or_b32_e32 v7, v13, v7
	v_lshl_or_b32 v8, v11, 12, v5
	v_cmp_gt_i32_e32 vcc, 1, v11
	v_cndmask_b32_e32 v7, v8, v7, vcc
	v_and_b32_e32 v8, 7, v7
	v_cmp_lt_i32_e32 vcc, 5, v8
	v_cmp_eq_u32_e64 s[2:3], 3, v8
	v_lshrrev_b32_e32 v13, 2, v7
	ds_read2st64_b32 v[7:8], v57 offset0:80 offset1:88
	s_or_b64 vcc, s[2:3], vcc
	v_addc_co_u32_e32 v13, vcc, 0, v13, vcc
	v_cmp_gt_i32_e32 vcc, 31, v11
	s_waitcnt lgkmcnt(0)
	v_lshrrev_b32_e32 v17, 16, v7
	v_cndmask_b32_e32 v16, v15, v13, vcc
	v_mul_f16_sdwa v13, v70, v17 dst_sel:DWORD dst_unused:UNUSED_PAD src0_sel:WORD_1 src1_sel:DWORD
	v_fma_f16 v13, v70, v7, v13
	v_cvt_f32_f16_e32 v13, v13
	v_cmp_ne_u32_e32 vcc, 0, v5
	v_cndmask_b32_e64 v5, 0, 1, vcc
	v_lshl_or_b32 v5, v5, 9, v15
	v_cvt_f64_f32_e32 v[13:14], v13
	v_cmp_eq_u32_e32 vcc, s17, v11
	v_cndmask_b32_e32 v5, v16, v5, vcc
	v_lshrrev_b32_e32 v11, 16, v12
	v_and_or_b32 v5, v11, s18, v5
	v_mul_f64 v[11:12], v[13:14], s[14:15]
	v_and_b32_e32 v0, 0xffff, v0
	v_add_co_u32_e32 v13, vcc, s10, v9
	v_lshl_or_b32 v0, v5, 16, v0
	v_addc_co_u32_e32 v14, vcc, v10, v3, vcc
	global_store_dword v[13:14], v0, off
	v_and_or_b32 v0, v12, s19, v11
	v_cmp_ne_u32_e32 vcc, 0, v0
	v_cndmask_b32_e64 v0, 0, 1, vcc
	v_lshrrev_b32_e32 v5, 8, v12
	v_bfe_u32 v9, v12, 20, 11
	v_and_or_b32 v0, v5, s16, v0
	v_sub_u32_e32 v10, 0x3f1, v9
	v_or_b32_e32 v5, 0x1000, v0
	v_med3_i32 v10, v10, 0, 13
	v_lshrrev_b32_e32 v11, v10, v5
	v_lshlrev_b32_e32 v10, v10, v11
	v_mul_f16_sdwa v7, v70, v7 dst_sel:DWORD dst_unused:UNUSED_PAD src0_sel:WORD_1 src1_sel:DWORD
	v_cmp_ne_u32_e32 vcc, v10, v5
	v_fma_f16 v7, v70, v17, -v7
	v_cndmask_b32_e64 v5, 0, 1, vcc
	v_add_u32_e32 v16, 0xfffffc10, v9
	v_cvt_f32_f16_e32 v7, v7
	v_or_b32_e32 v5, v11, v5
	v_lshl_or_b32 v9, v16, 12, v0
	v_cmp_gt_i32_e32 vcc, 1, v16
	v_cndmask_b32_e32 v5, v9, v5, vcc
	v_and_b32_e32 v9, 7, v5
	v_cmp_lt_i32_e32 vcc, 5, v9
	v_cmp_eq_u32_e64 s[2:3], 3, v9
	v_cvt_f64_f32_e32 v[9:10], v7
	v_lshrrev_b32_e32 v5, 2, v5
	s_or_b64 vcc, s[2:3], vcc
	v_addc_co_u32_e32 v5, vcc, 0, v5, vcc
	v_mul_f64 v[10:11], v[9:10], s[14:15]
	v_cmp_gt_i32_e32 vcc, 31, v16
	v_cndmask_b32_e32 v5, v15, v5, vcc
	v_cmp_ne_u32_e32 vcc, 0, v0
	v_cndmask_b32_e64 v0, 0, 1, vcc
	v_lshl_or_b32 v0, v0, 9, v15
	v_cmp_eq_u32_e32 vcc, s17, v16
	v_cndmask_b32_e32 v0, v5, v0, vcc
	v_lshrrev_b32_e32 v5, 16, v12
	v_and_or_b32 v0, v5, s18, v0
	v_and_or_b32 v5, v11, s19, v10
	v_cmp_ne_u32_e32 vcc, 0, v5
	v_cndmask_b32_e64 v5, 0, 1, vcc
	v_lshrrev_b32_e32 v7, 8, v11
	v_bfe_u32 v9, v11, 20, 11
	v_and_or_b32 v5, v7, s16, v5
	v_sub_u32_e32 v10, 0x3f1, v9
	v_or_b32_e32 v7, 0x1000, v5
	v_med3_i32 v10, v10, 0, 13
	v_lshrrev_b32_e32 v12, v10, v7
	v_lshlrev_b32_e32 v10, v10, v12
	v_cmp_ne_u32_e32 vcc, v10, v7
	v_cndmask_b32_e64 v7, 0, 1, vcc
	v_or_b32_e32 v7, v12, v7
	v_add_u32_e32 v12, 0xfffffc10, v9
	v_lshl_or_b32 v9, v12, 12, v5
	v_cmp_gt_i32_e32 vcc, 1, v12
	v_cndmask_b32_e32 v7, v9, v7, vcc
	v_and_b32_e32 v9, 7, v7
	v_cmp_lt_i32_e32 vcc, 5, v9
	v_cmp_eq_u32_e64 s[2:3], 3, v9
	ds_read2st64_b32 v[9:10], v57 offset0:100 offset1:108
	v_lshrrev_b32_e32 v7, 2, v7
	s_or_b64 vcc, s[2:3], vcc
	v_addc_co_u32_e32 v7, vcc, 0, v7, vcc
	s_waitcnt lgkmcnt(0)
	v_lshrrev_b32_e32 v18, 16, v9
	v_mul_f16_sdwa v16, v69, v18 dst_sel:DWORD dst_unused:UNUSED_PAD src0_sel:WORD_1 src1_sel:DWORD
	v_fma_f16 v16, v69, v9, v16
	v_cvt_f32_f16_e32 v16, v16
	v_cmp_gt_i32_e32 vcc, 31, v12
	v_cndmask_b32_e32 v7, v15, v7, vcc
	v_cmp_ne_u32_e32 vcc, 0, v5
	v_cvt_f64_f32_e32 v[16:17], v16
	v_cndmask_b32_e64 v5, 0, 1, vcc
	v_lshl_or_b32 v5, v5, 9, v15
	v_cmp_eq_u32_e32 vcc, s17, v12
	v_cndmask_b32_e32 v5, v7, v5, vcc
	v_lshrrev_b32_e32 v7, 16, v11
	v_mul_f64 v[11:12], v[16:17], s[14:15]
	v_and_or_b32 v5, v7, s18, v5
	v_and_b32_e32 v0, 0xffff, v0
	v_add_co_u32_e32 v13, vcc, s10, v13
	v_lshl_or_b32 v0, v5, 16, v0
	v_addc_co_u32_e32 v14, vcc, v14, v3, vcc
	global_store_dword v[13:14], v0, off
	v_and_or_b32 v0, v12, s19, v11
	v_cmp_ne_u32_e32 vcc, 0, v0
	v_cndmask_b32_e64 v0, 0, 1, vcc
	v_lshrrev_b32_e32 v5, 8, v12
	v_bfe_u32 v7, v12, 20, 11
	v_and_or_b32 v0, v5, s16, v0
	v_sub_u32_e32 v11, 0x3f1, v7
	v_mul_f16_sdwa v9, v69, v9 dst_sel:DWORD dst_unused:UNUSED_PAD src0_sel:WORD_1 src1_sel:DWORD
	v_or_b32_e32 v5, 0x1000, v0
	v_med3_i32 v11, v11, 0, 13
	v_fma_f16 v9, v69, v18, -v9
	v_lshrrev_b32_e32 v16, v11, v5
	v_cvt_f32_f16_e32 v9, v9
	v_lshlrev_b32_e32 v11, v11, v16
	v_cmp_ne_u32_e32 vcc, v11, v5
	v_cndmask_b32_e64 v5, 0, 1, vcc
	v_or_b32_e32 v5, v16, v5
	v_add_u32_e32 v7, 0xfffffc10, v7
	v_cvt_f64_f32_e32 v[16:17], v9
	v_lshl_or_b32 v11, v7, 12, v0
	v_cmp_gt_i32_e32 vcc, 1, v7
	v_cndmask_b32_e32 v5, v11, v5, vcc
	v_and_b32_e32 v11, 7, v5
	v_cmp_lt_i32_e32 vcc, 5, v11
	v_cmp_eq_u32_e64 s[2:3], 3, v11
	v_mul_f64 v[16:17], v[16:17], s[14:15]
	v_lshrrev_b32_e32 v5, 2, v5
	s_or_b64 vcc, s[2:3], vcc
	v_addc_co_u32_e32 v5, vcc, 0, v5, vcc
	v_cmp_gt_i32_e32 vcc, 31, v7
	v_cndmask_b32_e32 v5, v15, v5, vcc
	v_cmp_ne_u32_e32 vcc, 0, v0
	v_cndmask_b32_e64 v0, 0, 1, vcc
	v_lshl_or_b32 v0, v0, 9, v15
	v_cmp_eq_u32_e32 vcc, s17, v7
	v_cndmask_b32_e32 v0, v5, v0, vcc
	v_lshrrev_b32_e32 v5, 16, v12
	v_and_or_b32 v0, v5, s18, v0
	v_and_or_b32 v5, v17, s19, v16
	v_cmp_ne_u32_e32 vcc, 0, v5
	v_cndmask_b32_e64 v5, 0, 1, vcc
	v_lshrrev_b32_e32 v7, 8, v17
	v_bfe_u32 v9, v17, 20, 11
	v_and_or_b32 v5, v7, s16, v5
	v_sub_u32_e32 v11, 0x3f1, v9
	v_or_b32_e32 v7, 0x1000, v5
	v_med3_i32 v11, v11, 0, 13
	v_lshrrev_b32_e32 v12, v11, v7
	v_lshlrev_b32_e32 v11, v11, v12
	v_cmp_ne_u32_e32 vcc, v11, v7
	v_cndmask_b32_e64 v7, 0, 1, vcc
	v_add_u32_e32 v9, 0xfffffc10, v9
	v_or_b32_e32 v7, v12, v7
	v_lshl_or_b32 v11, v9, 12, v5
	v_cmp_gt_i32_e32 vcc, 1, v9
	v_cndmask_b32_e32 v7, v11, v7, vcc
	v_and_b32_e32 v11, 7, v7
	v_cmp_lt_i32_e32 vcc, 5, v11
	v_cmp_eq_u32_e64 s[2:3], 3, v11
	ds_read2st64_b32 v[11:12], v57 offset0:120 offset1:128
	v_lshrrev_b32_e32 v7, 2, v7
	s_or_b64 vcc, s[2:3], vcc
	v_addc_co_u32_e32 v7, vcc, 0, v7, vcc
	s_waitcnt lgkmcnt(0)
	v_lshrrev_b32_e32 v20, 16, v11
	v_mul_f16_sdwa v16, v68, v20 dst_sel:DWORD dst_unused:UNUSED_PAD src0_sel:WORD_1 src1_sel:DWORD
	v_fma_f16 v16, v68, v11, v16
	v_cvt_f32_f16_e32 v16, v16
	v_cmp_gt_i32_e32 vcc, 31, v9
	v_cndmask_b32_e32 v7, v15, v7, vcc
	v_cmp_ne_u32_e32 vcc, 0, v5
	v_cvt_f64_f32_e32 v[18:19], v16
	v_cndmask_b32_e64 v5, 0, 1, vcc
	v_lshl_or_b32 v5, v5, 9, v15
	v_cmp_eq_u32_e32 vcc, s17, v9
	v_cndmask_b32_e32 v5, v7, v5, vcc
	v_lshrrev_b32_e32 v7, 16, v17
	v_mul_f64 v[16:17], v[18:19], s[14:15]
	v_and_or_b32 v5, v7, s18, v5
	v_and_b32_e32 v0, 0xffff, v0
	v_add_co_u32_e32 v18, vcc, s10, v13
	v_lshl_or_b32 v0, v5, 16, v0
	v_addc_co_u32_e32 v19, vcc, v14, v3, vcc
	global_store_dword v[18:19], v0, off
	v_and_or_b32 v0, v17, s19, v16
	v_cmp_ne_u32_e32 vcc, 0, v0
	v_cndmask_b32_e64 v0, 0, 1, vcc
	v_lshrrev_b32_e32 v5, 8, v17
	v_bfe_u32 v7, v17, 20, 11
	v_and_or_b32 v0, v5, s16, v0
	v_sub_u32_e32 v9, 0x3f1, v7
	v_mul_f16_sdwa v11, v68, v11 dst_sel:DWORD dst_unused:UNUSED_PAD src0_sel:WORD_1 src1_sel:DWORD
	v_or_b32_e32 v5, 0x1000, v0
	v_med3_i32 v9, v9, 0, 13
	v_fma_f16 v11, v68, v20, -v11
	v_lshrrev_b32_e32 v13, v9, v5
	v_cvt_f32_f16_e32 v11, v11
	v_lshlrev_b32_e32 v9, v9, v13
	v_cmp_ne_u32_e32 vcc, v9, v5
	v_cndmask_b32_e64 v5, 0, 1, vcc
	v_or_b32_e32 v5, v13, v5
	v_add_u32_e32 v7, 0xfffffc10, v7
	v_cvt_f64_f32_e32 v[13:14], v11
	v_lshl_or_b32 v9, v7, 12, v0
	v_cmp_gt_i32_e32 vcc, 1, v7
	v_cndmask_b32_e32 v5, v9, v5, vcc
	v_and_b32_e32 v9, 7, v5
	v_cmp_lt_i32_e32 vcc, 5, v9
	v_cmp_eq_u32_e64 s[2:3], 3, v9
	v_mul_f64 v[20:21], v[13:14], s[14:15]
	v_lshrrev_b32_e32 v5, 2, v5
	s_or_b64 vcc, s[2:3], vcc
	v_addc_co_u32_e32 v5, vcc, 0, v5, vcc
	v_cmp_gt_i32_e32 vcc, 31, v7
	v_cndmask_b32_e32 v5, v15, v5, vcc
	v_cmp_ne_u32_e32 vcc, 0, v0
	v_cndmask_b32_e64 v0, 0, 1, vcc
	v_lshl_or_b32 v0, v0, 9, v15
	v_cmp_eq_u32_e32 vcc, s17, v7
	v_cndmask_b32_e32 v0, v5, v0, vcc
	v_lshrrev_b32_e32 v5, 16, v17
	v_and_or_b32 v0, v5, s18, v0
	v_and_or_b32 v5, v21, s19, v20
	v_cmp_ne_u32_e32 vcc, 0, v5
	v_cndmask_b32_e64 v5, 0, 1, vcc
	v_lshrrev_b32_e32 v7, 8, v21
	v_bfe_u32 v9, v21, 20, 11
	v_and_or_b32 v5, v7, s16, v5
	v_sub_u32_e32 v11, 0x3f1, v9
	v_or_b32_e32 v7, 0x1000, v5
	v_med3_i32 v11, v11, 0, 13
	v_lshrrev_b32_e32 v13, v11, v7
	v_lshlrev_b32_e32 v11, v11, v13
	v_cmp_ne_u32_e32 vcc, v11, v7
	v_cndmask_b32_e64 v7, 0, 1, vcc
	v_or_b32_e32 v7, v13, v7
	ds_read2st64_b32 v[13:14], v57 offset0:140 offset1:148
	v_add_u32_e32 v9, 0xfffffc10, v9
	v_lshl_or_b32 v11, v9, 12, v5
	v_cmp_gt_i32_e32 vcc, 1, v9
	v_cndmask_b32_e32 v7, v11, v7, vcc
	v_and_b32_e32 v11, 7, v7
	v_cmp_lt_i32_e32 vcc, 5, v11
	v_cmp_eq_u32_e64 s[2:3], 3, v11
	s_waitcnt lgkmcnt(0)
	v_lshrrev_b32_e32 v11, 16, v13
	v_mul_f16_sdwa v16, v67, v11 dst_sel:DWORD dst_unused:UNUSED_PAD src0_sel:WORD_1 src1_sel:DWORD
	v_fma_f16 v16, v67, v13, v16
	v_cvt_f32_f16_e32 v16, v16
	v_lshrrev_b32_e32 v7, 2, v7
	s_or_b64 vcc, s[2:3], vcc
	v_addc_co_u32_e32 v7, vcc, 0, v7, vcc
	v_cvt_f64_f32_e32 v[16:17], v16
	v_cmp_gt_i32_e32 vcc, 31, v9
	v_cndmask_b32_e32 v7, v15, v7, vcc
	v_cmp_ne_u32_e32 vcc, 0, v5
	v_mul_f64 v[16:17], v[16:17], s[14:15]
	v_cndmask_b32_e64 v5, 0, 1, vcc
	v_lshl_or_b32 v5, v5, 9, v15
	v_cmp_eq_u32_e32 vcc, s17, v9
	v_cndmask_b32_e32 v5, v7, v5, vcc
	v_lshrrev_b32_e32 v7, 16, v21
	v_and_or_b32 v5, v7, s18, v5
	v_and_b32_e32 v0, 0xffff, v0
	v_add_co_u32_e32 v18, vcc, s10, v18
	v_lshl_or_b32 v0, v5, 16, v0
	v_addc_co_u32_e32 v19, vcc, v19, v3, vcc
	global_store_dword v[18:19], v0, off
	v_and_or_b32 v0, v17, s19, v16
	v_cmp_ne_u32_e32 vcc, 0, v0
	v_cndmask_b32_e64 v0, 0, 1, vcc
	v_lshrrev_b32_e32 v5, 8, v17
	v_bfe_u32 v7, v17, 20, 11
	v_mul_f16_sdwa v13, v67, v13 dst_sel:DWORD dst_unused:UNUSED_PAD src0_sel:WORD_1 src1_sel:DWORD
	v_and_or_b32 v0, v5, s16, v0
	v_sub_u32_e32 v9, 0x3f1, v7
	v_fma_f16 v11, v67, v11, -v13
	v_or_b32_e32 v5, 0x1000, v0
	v_med3_i32 v9, v9, 0, 13
	v_cvt_f32_f16_e32 v11, v11
	v_lshrrev_b32_e32 v16, v9, v5
	v_lshlrev_b32_e32 v9, v9, v16
	v_cmp_ne_u32_e32 vcc, v9, v5
	v_cndmask_b32_e64 v5, 0, 1, vcc
	v_add_u32_e32 v7, 0xfffffc10, v7
	v_cvt_f64_f32_e32 v[20:21], v11
	v_or_b32_e32 v5, v16, v5
	v_lshl_or_b32 v9, v7, 12, v0
	v_cmp_gt_i32_e32 vcc, 1, v7
	v_cndmask_b32_e32 v5, v9, v5, vcc
	v_and_b32_e32 v9, 7, v5
	v_cmp_lt_i32_e32 vcc, 5, v9
	v_cmp_eq_u32_e64 s[2:3], 3, v9
	v_mul_f64 v[20:21], v[20:21], s[14:15]
	v_lshrrev_b32_e32 v5, 2, v5
	s_or_b64 vcc, s[2:3], vcc
	v_addc_co_u32_e32 v5, vcc, 0, v5, vcc
	v_cmp_gt_i32_e32 vcc, 31, v7
	v_cndmask_b32_e32 v5, v15, v5, vcc
	v_cmp_ne_u32_e32 vcc, 0, v0
	v_cndmask_b32_e64 v0, 0, 1, vcc
	v_lshl_or_b32 v0, v0, 9, v15
	v_cmp_eq_u32_e32 vcc, s17, v7
	v_cndmask_b32_e32 v0, v5, v0, vcc
	v_lshrrev_b32_e32 v5, 16, v17
	v_and_or_b32 v0, v5, s18, v0
	v_and_or_b32 v5, v21, s19, v20
	v_cmp_ne_u32_e32 vcc, 0, v5
	v_cndmask_b32_e64 v5, 0, 1, vcc
	v_lshrrev_b32_e32 v7, 8, v21
	v_bfe_u32 v9, v21, 20, 11
	v_and_or_b32 v5, v7, s16, v5
	v_sub_u32_e32 v11, 0x3f1, v9
	v_or_b32_e32 v7, 0x1000, v5
	v_med3_i32 v11, v11, 0, 13
	v_lshrrev_b32_e32 v13, v11, v7
	v_lshlrev_b32_e32 v11, v11, v13
	v_cmp_ne_u32_e32 vcc, v11, v7
	v_cndmask_b32_e64 v7, 0, 1, vcc
	v_add_u32_e32 v9, 0xfffffc10, v9
	v_or_b32_e32 v7, v13, v7
	v_lshl_or_b32 v11, v9, 12, v5
	v_cmp_gt_i32_e32 vcc, 1, v9
	v_cndmask_b32_e32 v7, v11, v7, vcc
	v_and_b32_e32 v11, 7, v7
	v_cmp_lt_i32_e32 vcc, 5, v11
	v_cmp_eq_u32_e64 s[2:3], 3, v11
	v_lshrrev_b32_e32 v11, 16, v2
	v_mul_f16_sdwa v13, v66, v11 dst_sel:DWORD dst_unused:UNUSED_PAD src0_sel:WORD_1 src1_sel:DWORD
	v_fma_f16 v13, v66, v2, v13
	v_cvt_f32_f16_e32 v13, v13
	v_lshrrev_b32_e32 v7, 2, v7
	s_or_b64 vcc, s[2:3], vcc
	v_addc_co_u32_e32 v7, vcc, 0, v7, vcc
	v_cvt_f64_f32_e32 v[16:17], v13
	v_cmp_gt_i32_e32 vcc, 31, v9
	v_cndmask_b32_e32 v7, v15, v7, vcc
	v_cmp_ne_u32_e32 vcc, 0, v5
	v_mul_f64 v[16:17], v[16:17], s[14:15]
	v_cndmask_b32_e64 v5, 0, 1, vcc
	v_lshl_or_b32 v5, v5, 9, v15
	v_cmp_eq_u32_e32 vcc, s17, v9
	v_cndmask_b32_e32 v5, v7, v5, vcc
	v_lshrrev_b32_e32 v7, 16, v21
	v_and_or_b32 v5, v7, s18, v5
	v_and_b32_e32 v0, 0xffff, v0
	v_add_co_u32_e32 v18, vcc, s10, v18
	v_lshl_or_b32 v0, v5, 16, v0
	v_addc_co_u32_e32 v19, vcc, v19, v3, vcc
	global_store_dword v[18:19], v0, off
	v_and_or_b32 v0, v17, s19, v16
	v_cmp_ne_u32_e32 vcc, 0, v0
	v_cndmask_b32_e64 v0, 0, 1, vcc
	v_lshrrev_b32_e32 v5, 8, v17
	v_bfe_u32 v7, v17, 20, 11
	v_mul_f16_sdwa v2, v66, v2 dst_sel:DWORD dst_unused:UNUSED_PAD src0_sel:WORD_1 src1_sel:DWORD
	v_and_or_b32 v0, v5, s16, v0
	v_sub_u32_e32 v9, 0x3f1, v7
	v_fma_f16 v2, v66, v11, -v2
	v_or_b32_e32 v5, 0x1000, v0
	v_med3_i32 v9, v9, 0, 13
	v_cvt_f32_f16_e32 v2, v2
	v_lshrrev_b32_e32 v13, v9, v5
	v_lshlrev_b32_e32 v9, v9, v13
	v_cmp_ne_u32_e32 vcc, v9, v5
	v_cndmask_b32_e64 v5, 0, 1, vcc
	v_add_u32_e32 v7, 0xfffffc10, v7
	v_cvt_f64_f32_e32 v[20:21], v2
	v_or_b32_e32 v5, v13, v5
	v_lshl_or_b32 v9, v7, 12, v0
	v_cmp_gt_i32_e32 vcc, 1, v7
	v_cndmask_b32_e32 v5, v9, v5, vcc
	v_and_b32_e32 v9, 7, v5
	v_cmp_lt_i32_e32 vcc, 5, v9
	v_cmp_eq_u32_e64 s[2:3], 3, v9
	v_mul_f64 v[20:21], v[20:21], s[14:15]
	v_lshrrev_b32_e32 v5, 2, v5
	s_or_b64 vcc, s[2:3], vcc
	v_addc_co_u32_e32 v2, vcc, 0, v5, vcc
	v_cmp_gt_i32_e32 vcc, 31, v7
	v_cndmask_b32_e32 v2, v15, v2, vcc
	v_cmp_ne_u32_e32 vcc, 0, v0
	v_cndmask_b32_e64 v0, 0, 1, vcc
	v_lshl_or_b32 v0, v0, 9, v15
	v_cmp_eq_u32_e32 vcc, s17, v7
	v_cndmask_b32_e32 v0, v2, v0, vcc
	v_lshrrev_b32_e32 v2, 16, v17
	v_and_or_b32 v0, v2, s18, v0
	v_and_or_b32 v2, v21, s19, v20
	v_cmp_ne_u32_e32 vcc, 0, v2
	v_cndmask_b32_e64 v2, 0, 1, vcc
	v_lshrrev_b32_e32 v5, 8, v21
	v_bfe_u32 v7, v21, 20, 11
	v_and_or_b32 v2, v5, s16, v2
	v_sub_u32_e32 v9, 0x3f1, v7
	v_or_b32_e32 v5, 0x1000, v2
	v_med3_i32 v9, v9, 0, 13
	v_lshrrev_b32_e32 v11, v9, v5
	v_lshlrev_b32_e32 v9, v9, v11
	v_cmp_ne_u32_e32 vcc, v9, v5
	v_cndmask_b32_e64 v5, 0, 1, vcc
	v_add_u32_e32 v7, 0xfffffc10, v7
	v_or_b32_e32 v5, v11, v5
	v_lshl_or_b32 v9, v7, 12, v2
	v_cmp_gt_i32_e32 vcc, 1, v7
	v_cndmask_b32_e32 v5, v9, v5, vcc
	v_and_b32_e32 v9, 7, v5
	v_cmp_lt_i32_e32 vcc, 5, v9
	v_cmp_eq_u32_e64 s[2:3], 3, v9
	v_lshrrev_b32_e32 v5, 2, v5
	s_or_b64 vcc, s[2:3], vcc
	v_addc_co_u32_e32 v5, vcc, 0, v5, vcc
	v_cmp_gt_i32_e32 vcc, 31, v7
	v_cndmask_b32_e32 v5, v15, v5, vcc
	v_cmp_ne_u32_e32 vcc, 0, v2
	v_cndmask_b32_e64 v2, 0, 1, vcc
	v_lshl_or_b32 v2, v2, 9, v15
	v_cmp_eq_u32_e32 vcc, s17, v7
	v_cndmask_b32_e32 v2, v5, v2, vcc
	v_lshrrev_b32_e32 v5, 16, v21
	v_and_or_b32 v2, v5, s18, v2
	v_lshrrev_b32_e32 v5, 16, v4
	v_mul_f16_sdwa v7, v65, v5 dst_sel:DWORD dst_unused:UNUSED_PAD src0_sel:WORD_1 src1_sel:DWORD
	v_fma_f16 v7, v65, v4, v7
	v_cvt_f32_f16_e32 v7, v7
	s_mul_hi_u32 s3, s8, 0xffffdf00
	s_mul_i32 s2, s9, 0xffffdf00
	s_sub_i32 s3, s3, s8
	v_cvt_f64_f32_e32 v[16:17], v7
	s_add_i32 s3, s3, s2
	s_mul_i32 s2, s8, 0xffffdf00
	v_and_b32_e32 v0, 0xffff, v0
	v_mul_f64 v[16:17], v[16:17], s[14:15]
	s_lshl_b64 s[4:5], s[2:3], 2
	v_lshl_or_b32 v0, v2, 16, v0
	v_mov_b32_e32 v2, s5
	v_add_co_u32_e32 v18, vcc, s4, v18
	v_addc_co_u32_e32 v19, vcc, v19, v2, vcc
	global_store_dword v[18:19], v0, off
	v_and_or_b32 v0, v17, s19, v16
	v_cmp_ne_u32_e32 vcc, 0, v0
	v_cndmask_b32_e64 v0, 0, 1, vcc
	v_lshrrev_b32_e32 v2, 8, v17
	v_bfe_u32 v7, v17, 20, 11
	v_mul_f16_sdwa v4, v65, v4 dst_sel:DWORD dst_unused:UNUSED_PAD src0_sel:WORD_1 src1_sel:DWORD
	v_and_or_b32 v0, v2, s16, v0
	v_sub_u32_e32 v9, 0x3f1, v7
	v_fma_f16 v4, v65, v5, -v4
	v_or_b32_e32 v2, 0x1000, v0
	v_med3_i32 v9, v9, 0, 13
	v_cvt_f32_f16_e32 v4, v4
	v_lshrrev_b32_e32 v11, v9, v2
	v_lshlrev_b32_e32 v9, v9, v11
	v_cmp_ne_u32_e32 vcc, v9, v2
	v_cndmask_b32_e64 v2, 0, 1, vcc
	v_add_u32_e32 v7, 0xfffffc10, v7
	v_cvt_f64_f32_e32 v[4:5], v4
	v_or_b32_e32 v2, v11, v2
	v_lshl_or_b32 v9, v7, 12, v0
	v_cmp_gt_i32_e32 vcc, 1, v7
	v_cndmask_b32_e32 v2, v9, v2, vcc
	v_and_b32_e32 v9, 7, v2
	v_cmp_lt_i32_e32 vcc, 5, v9
	v_cmp_eq_u32_e64 s[2:3], 3, v9
	v_mul_f64 v[4:5], v[4:5], s[14:15]
	v_lshrrev_b32_e32 v2, 2, v2
	s_or_b64 vcc, s[2:3], vcc
	v_addc_co_u32_e32 v2, vcc, 0, v2, vcc
	v_cmp_gt_i32_e32 vcc, 31, v7
	v_cndmask_b32_e32 v2, v15, v2, vcc
	v_cmp_ne_u32_e32 vcc, 0, v0
	v_cndmask_b32_e64 v0, 0, 1, vcc
	v_lshl_or_b32 v0, v0, 9, v15
	v_cmp_eq_u32_e32 vcc, s17, v7
	v_cndmask_b32_e32 v0, v2, v0, vcc
	v_lshrrev_b32_e32 v2, 16, v17
	v_and_or_b32 v0, v2, s18, v0
	v_and_or_b32 v2, v5, s19, v4
	v_cmp_ne_u32_e32 vcc, 0, v2
	v_cndmask_b32_e64 v2, 0, 1, vcc
	v_lshrrev_b32_e32 v4, 8, v5
	v_bfe_u32 v7, v5, 20, 11
	v_and_or_b32 v2, v4, s16, v2
	v_sub_u32_e32 v9, 0x3f1, v7
	v_or_b32_e32 v4, 0x1000, v2
	v_med3_i32 v9, v9, 0, 13
	v_lshrrev_b32_e32 v11, v9, v4
	v_lshlrev_b32_e32 v9, v9, v11
	v_cmp_ne_u32_e32 vcc, v9, v4
	v_cndmask_b32_e64 v4, 0, 1, vcc
	v_add_u32_e32 v7, 0xfffffc10, v7
	v_or_b32_e32 v4, v11, v4
	v_lshl_or_b32 v9, v7, 12, v2
	v_cmp_gt_i32_e32 vcc, 1, v7
	v_cndmask_b32_e32 v4, v9, v4, vcc
	v_and_b32_e32 v9, 7, v4
	v_cmp_lt_i32_e32 vcc, 5, v9
	v_cmp_eq_u32_e64 s[2:3], 3, v9
	v_lshrrev_b32_e32 v9, 16, v1
	v_mul_f16_sdwa v11, v64, v9 dst_sel:DWORD dst_unused:UNUSED_PAD src0_sel:WORD_1 src1_sel:DWORD
	v_fma_f16 v11, v64, v1, v11
	v_cvt_f32_f16_e32 v11, v11
	v_lshrrev_b32_e32 v4, 2, v4
	s_or_b64 vcc, s[2:3], vcc
	v_addc_co_u32_e32 v4, vcc, 0, v4, vcc
	v_cmp_gt_i32_e32 vcc, 31, v7
	v_cndmask_b32_e32 v4, v15, v4, vcc
	v_cmp_ne_u32_e32 vcc, 0, v2
	v_cvt_f64_f32_e32 v[16:17], v11
	v_cndmask_b32_e64 v2, 0, 1, vcc
	v_lshl_or_b32 v2, v2, 9, v15
	v_cmp_eq_u32_e32 vcc, s17, v7
	v_cndmask_b32_e32 v2, v4, v2, vcc
	v_lshrrev_b32_e32 v4, 16, v5
	v_and_or_b32 v2, v4, s18, v2
	v_mul_f64 v[4:5], v[16:17], s[14:15]
	v_and_b32_e32 v0, 0xffff, v0
	v_add_co_u32_e32 v16, vcc, s10, v18
	v_lshl_or_b32 v0, v2, 16, v0
	v_addc_co_u32_e32 v17, vcc, v19, v3, vcc
	global_store_dword v[16:17], v0, off
	v_and_or_b32 v0, v5, s19, v4
	v_cmp_ne_u32_e32 vcc, 0, v0
	v_cndmask_b32_e64 v0, 0, 1, vcc
	v_lshrrev_b32_e32 v2, 8, v5
	v_bfe_u32 v4, v5, 20, 11
	v_and_or_b32 v2, v2, s16, v0
	v_sub_u32_e32 v7, 0x3f1, v4
	v_or_b32_e32 v0, 0x1000, v2
	v_med3_i32 v7, v7, 0, 13
	v_lshrrev_b32_e32 v11, v7, v0
	v_lshlrev_b32_e32 v7, v7, v11
	v_mul_f16_sdwa v1, v64, v1 dst_sel:DWORD dst_unused:UNUSED_PAD src0_sel:WORD_1 src1_sel:DWORD
	v_cmp_ne_u32_e32 vcc, v7, v0
	v_fma_f16 v1, v64, v9, -v1
	v_cndmask_b32_e64 v0, 0, 1, vcc
	v_add_u32_e32 v4, 0xfffffc10, v4
	v_cvt_f32_f16_e32 v1, v1
	v_or_b32_e32 v0, v11, v0
	v_lshl_or_b32 v7, v4, 12, v2
	v_cmp_gt_i32_e32 vcc, 1, v4
	v_cndmask_b32_e32 v0, v7, v0, vcc
	v_and_b32_e32 v7, 7, v0
	v_cmp_lt_i32_e32 vcc, 5, v7
	v_cmp_eq_u32_e64 s[2:3], 3, v7
	v_lshrrev_b32_e32 v7, 2, v0
	v_cvt_f64_f32_e32 v[0:1], v1
	s_or_b64 vcc, s[2:3], vcc
	v_addc_co_u32_e32 v7, vcc, 0, v7, vcc
	v_mul_f64 v[0:1], v[0:1], s[14:15]
	v_cmp_gt_i32_e32 vcc, 31, v4
	v_cndmask_b32_e32 v7, v15, v7, vcc
	v_cmp_ne_u32_e32 vcc, 0, v2
	v_cndmask_b32_e64 v2, 0, 1, vcc
	v_lshl_or_b32 v2, v2, 9, v15
	v_cmp_eq_u32_e32 vcc, s17, v4
	v_cndmask_b32_e32 v2, v7, v2, vcc
	v_and_or_b32 v0, v1, s19, v0
	v_lshrrev_b32_e32 v4, 16, v5
	v_cmp_ne_u32_e32 vcc, 0, v0
	v_and_or_b32 v2, v4, s18, v2
	v_cndmask_b32_e64 v0, 0, 1, vcc
	v_lshrrev_b32_e32 v4, 8, v1
	v_bfe_u32 v5, v1, 20, 11
	v_and_or_b32 v0, v4, s16, v0
	v_sub_u32_e32 v7, 0x3f1, v5
	v_or_b32_e32 v4, 0x1000, v0
	v_med3_i32 v7, v7, 0, 13
	v_lshrrev_b32_e32 v9, v7, v4
	v_lshlrev_b32_e32 v7, v7, v9
	v_cmp_ne_u32_e32 vcc, v7, v4
	v_cndmask_b32_e64 v4, 0, 1, vcc
	v_add_u32_e32 v7, 0xfffffc10, v5
	v_or_b32_e32 v4, v9, v4
	v_lshl_or_b32 v5, v7, 12, v0
	v_cmp_gt_i32_e32 vcc, 1, v7
	v_cndmask_b32_e32 v4, v5, v4, vcc
	v_and_b32_e32 v5, 7, v4
	v_cmp_lt_i32_e32 vcc, 5, v5
	v_cmp_eq_u32_e64 s[2:3], 3, v5
	v_lshrrev_b32_e32 v4, 2, v4
	s_or_b64 vcc, s[2:3], vcc
	v_addc_co_u32_e32 v4, vcc, 0, v4, vcc
	v_cmp_gt_i32_e32 vcc, 31, v7
	v_lshrrev_b32_e32 v11, 16, v6
	v_cndmask_b32_e32 v9, v15, v4, vcc
	v_mul_f16_sdwa v4, v63, v11 dst_sel:DWORD dst_unused:UNUSED_PAD src0_sel:WORD_1 src1_sel:DWORD
	v_fma_f16 v4, v63, v6, v4
	v_cvt_f32_f16_e32 v4, v4
	v_cmp_ne_u32_e32 vcc, 0, v0
	v_cndmask_b32_e64 v0, 0, 1, vcc
	v_lshl_or_b32 v0, v0, 9, v15
	v_cvt_f64_f32_e32 v[4:5], v4
	v_cmp_eq_u32_e32 vcc, s17, v7
	v_cndmask_b32_e32 v0, v9, v0, vcc
	v_lshrrev_b32_e32 v1, 16, v1
	v_and_or_b32 v7, v1, s18, v0
	v_mul_f64 v[0:1], v[4:5], s[14:15]
	v_add_co_u32_e32 v4, vcc, s10, v16
	v_and_b32_e32 v2, 0xffff, v2
	v_addc_co_u32_e32 v5, vcc, v17, v3, vcc
	v_lshl_or_b32 v2, v7, 16, v2
	global_store_dword v[4:5], v2, off
	v_and_or_b32 v0, v1, s19, v0
	v_cmp_ne_u32_e32 vcc, 0, v0
	v_cndmask_b32_e64 v0, 0, 1, vcc
	v_lshrrev_b32_e32 v2, 8, v1
	v_bfe_u32 v7, v1, 20, 11
	v_and_or_b32 v0, v2, s16, v0
	v_sub_u32_e32 v9, 0x3f1, v7
	v_or_b32_e32 v2, 0x1000, v0
	v_med3_i32 v9, v9, 0, 13
	v_lshrrev_b32_e32 v13, v9, v2
	v_lshlrev_b32_e32 v9, v9, v13
	v_mul_f16_sdwa v6, v63, v6 dst_sel:DWORD dst_unused:UNUSED_PAD src0_sel:WORD_1 src1_sel:DWORD
	v_cmp_ne_u32_e32 vcc, v9, v2
	v_fma_f16 v6, v63, v11, -v6
	v_cndmask_b32_e64 v2, 0, 1, vcc
	v_add_u32_e32 v9, 0xfffffc10, v7
	v_cvt_f32_f16_e32 v6, v6
	v_or_b32_e32 v2, v13, v2
	v_lshl_or_b32 v7, v9, 12, v0
	v_cmp_gt_i32_e32 vcc, 1, v9
	v_cndmask_b32_e32 v2, v7, v2, vcc
	v_and_b32_e32 v7, 7, v2
	v_cmp_lt_i32_e32 vcc, 5, v7
	v_cmp_eq_u32_e64 s[2:3], 3, v7
	v_cvt_f64_f32_e32 v[6:7], v6
	v_lshrrev_b32_e32 v2, 2, v2
	s_or_b64 vcc, s[2:3], vcc
	v_addc_co_u32_e32 v2, vcc, 0, v2, vcc
	v_mul_f64 v[6:7], v[6:7], s[14:15]
	v_cmp_gt_i32_e32 vcc, 31, v9
	v_cndmask_b32_e32 v2, v15, v2, vcc
	v_cmp_ne_u32_e32 vcc, 0, v0
	v_cndmask_b32_e64 v0, 0, 1, vcc
	v_lshl_or_b32 v0, v0, 9, v15
	v_cmp_eq_u32_e32 vcc, s17, v9
	v_cndmask_b32_e32 v0, v2, v0, vcc
	v_lshrrev_b32_e32 v1, 16, v1
	v_and_or_b32 v2, v1, s18, v0
	v_and_or_b32 v0, v7, s19, v6
	v_cmp_ne_u32_e32 vcc, 0, v0
	v_cndmask_b32_e64 v0, 0, 1, vcc
	v_lshrrev_b32_e32 v1, 8, v7
	v_bfe_u32 v6, v7, 20, 11
	v_and_or_b32 v0, v1, s16, v0
	v_sub_u32_e32 v9, 0x3f1, v6
	v_or_b32_e32 v1, 0x1000, v0
	v_med3_i32 v9, v9, 0, 13
	v_lshrrev_b32_e32 v11, v9, v1
	v_lshlrev_b32_e32 v9, v9, v11
	v_cmp_ne_u32_e32 vcc, v9, v1
	v_cndmask_b32_e64 v1, 0, 1, vcc
	v_add_u32_e32 v6, 0xfffffc10, v6
	v_or_b32_e32 v1, v11, v1
	v_lshl_or_b32 v9, v6, 12, v0
	v_cmp_gt_i32_e32 vcc, 1, v6
	v_cndmask_b32_e32 v1, v9, v1, vcc
	v_and_b32_e32 v9, 7, v1
	v_cmp_lt_i32_e32 vcc, 5, v9
	v_cmp_eq_u32_e64 s[2:3], 3, v9
	v_lshrrev_b32_e32 v1, 2, v1
	s_or_b64 vcc, s[2:3], vcc
	v_addc_co_u32_e32 v1, vcc, 0, v1, vcc
	v_cmp_gt_i32_e32 vcc, 31, v6
	v_lshrrev_b32_e32 v11, 16, v8
	v_cndmask_b32_e32 v9, v15, v1, vcc
	v_mul_f16_sdwa v1, v62, v11 dst_sel:DWORD dst_unused:UNUSED_PAD src0_sel:WORD_1 src1_sel:DWORD
	v_fma_f16 v1, v62, v8, v1
	v_cvt_f32_f16_e32 v1, v1
	v_cmp_ne_u32_e32 vcc, 0, v0
	v_cndmask_b32_e64 v0, 0, 1, vcc
	v_lshl_or_b32 v13, v0, 9, v15
	v_cvt_f64_f32_e32 v[0:1], v1
	v_cmp_eq_u32_e32 vcc, s17, v6
	v_cndmask_b32_e32 v6, v9, v13, vcc
	v_lshrrev_b32_e32 v7, 16, v7
	v_mul_f64 v[0:1], v[0:1], s[14:15]
	v_add_co_u32_e32 v4, vcc, s10, v4
	v_and_or_b32 v6, v7, s18, v6
	v_and_b32_e32 v2, 0xffff, v2
	v_addc_co_u32_e32 v5, vcc, v5, v3, vcc
	v_lshl_or_b32 v2, v6, 16, v2
	v_and_or_b32 v0, v1, s19, v0
	v_cmp_ne_u32_e32 vcc, 0, v0
	global_store_dword v[4:5], v2, off
	v_cndmask_b32_e64 v0, 0, 1, vcc
	v_lshrrev_b32_e32 v2, 8, v1
	v_bfe_u32 v6, v1, 20, 11
	v_and_or_b32 v0, v2, s16, v0
	v_sub_u32_e32 v7, 0x3f1, v6
	v_or_b32_e32 v2, 0x1000, v0
	v_med3_i32 v7, v7, 0, 13
	v_lshrrev_b32_e32 v9, v7, v2
	v_lshlrev_b32_e32 v7, v7, v9
	v_cmp_ne_u32_e32 vcc, v7, v2
	v_mul_f16_sdwa v7, v62, v8 dst_sel:DWORD dst_unused:UNUSED_PAD src0_sel:WORD_1 src1_sel:DWORD
	v_cndmask_b32_e64 v2, 0, 1, vcc
	v_fma_f16 v7, v62, v11, -v7
	v_or_b32_e32 v2, v9, v2
	v_add_u32_e32 v9, 0xfffffc10, v6
	v_cvt_f32_f16_e32 v7, v7
	v_lshl_or_b32 v6, v9, 12, v0
	v_cmp_gt_i32_e32 vcc, 1, v9
	v_cndmask_b32_e32 v2, v6, v2, vcc
	v_and_b32_e32 v6, 7, v2
	v_cmp_lt_i32_e32 vcc, 5, v6
	v_cmp_eq_u32_e64 s[2:3], 3, v6
	v_cvt_f64_f32_e32 v[6:7], v7
	v_lshrrev_b32_e32 v2, 2, v2
	s_or_b64 vcc, s[2:3], vcc
	v_addc_co_u32_e32 v2, vcc, 0, v2, vcc
	v_mul_f64 v[6:7], v[6:7], s[14:15]
	v_cmp_gt_i32_e32 vcc, 31, v9
	v_cndmask_b32_e32 v2, v15, v2, vcc
	v_cmp_ne_u32_e32 vcc, 0, v0
	v_cndmask_b32_e64 v0, 0, 1, vcc
	v_lshl_or_b32 v0, v0, 9, v15
	v_cmp_eq_u32_e32 vcc, s17, v9
	v_cndmask_b32_e32 v0, v2, v0, vcc
	v_lshrrev_b32_e32 v1, 16, v1
	v_and_or_b32 v2, v1, s18, v0
	v_and_or_b32 v0, v7, s19, v6
	v_cmp_ne_u32_e32 vcc, 0, v0
	v_cndmask_b32_e64 v0, 0, 1, vcc
	v_lshrrev_b32_e32 v1, 8, v7
	v_bfe_u32 v6, v7, 20, 11
	v_and_or_b32 v0, v1, s16, v0
	v_sub_u32_e32 v8, 0x3f1, v6
	v_or_b32_e32 v1, 0x1000, v0
	v_med3_i32 v8, v8, 0, 13
	v_lshrrev_b32_e32 v9, v8, v1
	v_lshlrev_b32_e32 v8, v8, v9
	v_cmp_ne_u32_e32 vcc, v8, v1
	v_cndmask_b32_e64 v1, 0, 1, vcc
	v_add_u32_e32 v6, 0xfffffc10, v6
	v_or_b32_e32 v1, v9, v1
	v_lshl_or_b32 v8, v6, 12, v0
	v_cmp_gt_i32_e32 vcc, 1, v6
	v_cndmask_b32_e32 v1, v8, v1, vcc
	v_and_b32_e32 v8, 7, v1
	v_cmp_lt_i32_e32 vcc, 5, v8
	v_cmp_eq_u32_e64 s[2:3], 3, v8
	v_lshrrev_b32_e32 v1, 2, v1
	s_or_b64 vcc, s[2:3], vcc
	v_addc_co_u32_e32 v1, vcc, 0, v1, vcc
	v_cmp_gt_i32_e32 vcc, 31, v6
	v_lshrrev_b32_e32 v9, 16, v10
	v_cndmask_b32_e32 v8, v15, v1, vcc
	v_mul_f16_sdwa v1, v61, v9 dst_sel:DWORD dst_unused:UNUSED_PAD src0_sel:WORD_1 src1_sel:DWORD
	v_fma_f16 v1, v61, v10, v1
	v_cvt_f32_f16_e32 v1, v1
	v_cmp_ne_u32_e32 vcc, 0, v0
	v_cndmask_b32_e64 v0, 0, 1, vcc
	v_lshl_or_b32 v11, v0, 9, v15
	v_cvt_f64_f32_e32 v[0:1], v1
	v_cmp_eq_u32_e32 vcc, s17, v6
	v_cndmask_b32_e32 v6, v8, v11, vcc
	v_lshrrev_b32_e32 v7, 16, v7
	v_mul_f64 v[0:1], v[0:1], s[14:15]
	v_add_co_u32_e32 v4, vcc, s10, v4
	v_and_or_b32 v6, v7, s18, v6
	v_and_b32_e32 v2, 0xffff, v2
	v_addc_co_u32_e32 v5, vcc, v5, v3, vcc
	v_lshl_or_b32 v2, v6, 16, v2
	v_and_or_b32 v0, v1, s19, v0
	v_cmp_ne_u32_e32 vcc, 0, v0
	global_store_dword v[4:5], v2, off
	v_cndmask_b32_e64 v0, 0, 1, vcc
	v_lshrrev_b32_e32 v2, 8, v1
	v_bfe_u32 v6, v1, 20, 11
	v_and_or_b32 v0, v2, s16, v0
	v_sub_u32_e32 v7, 0x3f1, v6
	v_or_b32_e32 v2, 0x1000, v0
	v_med3_i32 v7, v7, 0, 13
	v_lshrrev_b32_e32 v8, v7, v2
	v_lshlrev_b32_e32 v7, v7, v8
	v_cmp_ne_u32_e32 vcc, v7, v2
	v_mul_f16_sdwa v7, v61, v10 dst_sel:DWORD dst_unused:UNUSED_PAD src0_sel:WORD_1 src1_sel:DWORD
	v_cndmask_b32_e64 v2, 0, 1, vcc
	v_fma_f16 v7, v61, v9, -v7
	v_or_b32_e32 v2, v8, v2
	v_add_u32_e32 v8, 0xfffffc10, v6
	v_cvt_f32_f16_e32 v7, v7
	v_lshl_or_b32 v6, v8, 12, v0
	v_cmp_gt_i32_e32 vcc, 1, v8
	v_cndmask_b32_e32 v2, v6, v2, vcc
	v_and_b32_e32 v6, 7, v2
	v_cmp_lt_i32_e32 vcc, 5, v6
	v_cmp_eq_u32_e64 s[2:3], 3, v6
	v_cvt_f64_f32_e32 v[6:7], v7
	v_lshrrev_b32_e32 v2, 2, v2
	s_or_b64 vcc, s[2:3], vcc
	v_addc_co_u32_e32 v2, vcc, 0, v2, vcc
	v_mul_f64 v[6:7], v[6:7], s[14:15]
	v_cmp_gt_i32_e32 vcc, 31, v8
	v_cndmask_b32_e32 v2, v15, v2, vcc
	v_cmp_ne_u32_e32 vcc, 0, v0
	v_cndmask_b32_e64 v0, 0, 1, vcc
	v_lshl_or_b32 v0, v0, 9, v15
	v_cmp_eq_u32_e32 vcc, s17, v8
	v_cndmask_b32_e32 v0, v2, v0, vcc
	v_lshrrev_b32_e32 v1, 16, v1
	v_and_or_b32 v2, v1, s18, v0
	v_and_or_b32 v0, v7, s19, v6
	v_cmp_ne_u32_e32 vcc, 0, v0
	v_cndmask_b32_e64 v0, 0, 1, vcc
	v_lshrrev_b32_e32 v1, 8, v7
	v_bfe_u32 v6, v7, 20, 11
	v_and_or_b32 v0, v1, s16, v0
	v_sub_u32_e32 v8, 0x3f1, v6
	v_or_b32_e32 v1, 0x1000, v0
	v_med3_i32 v8, v8, 0, 13
	v_lshrrev_b32_e32 v9, v8, v1
	v_lshlrev_b32_e32 v8, v8, v9
	v_cmp_ne_u32_e32 vcc, v8, v1
	v_cndmask_b32_e64 v1, 0, 1, vcc
	v_add_u32_e32 v6, 0xfffffc10, v6
	v_or_b32_e32 v1, v9, v1
	v_lshl_or_b32 v8, v6, 12, v0
	v_cmp_gt_i32_e32 vcc, 1, v6
	v_cndmask_b32_e32 v1, v8, v1, vcc
	v_and_b32_e32 v8, 7, v1
	v_cmp_lt_i32_e32 vcc, 5, v8
	v_cmp_eq_u32_e64 s[2:3], 3, v8
	v_lshrrev_b32_e32 v1, 2, v1
	s_or_b64 vcc, s[2:3], vcc
	v_addc_co_u32_e32 v1, vcc, 0, v1, vcc
	v_cmp_gt_i32_e32 vcc, 31, v6
	v_lshrrev_b32_e32 v9, 16, v12
	v_cndmask_b32_e32 v8, v15, v1, vcc
	v_mul_f16_sdwa v1, v60, v9 dst_sel:DWORD dst_unused:UNUSED_PAD src0_sel:WORD_1 src1_sel:DWORD
	v_fma_f16 v1, v60, v12, v1
	v_cvt_f32_f16_e32 v1, v1
	v_cmp_ne_u32_e32 vcc, 0, v0
	v_cndmask_b32_e64 v0, 0, 1, vcc
	v_lshl_or_b32 v10, v0, 9, v15
	v_cvt_f64_f32_e32 v[0:1], v1
	v_cmp_eq_u32_e32 vcc, s17, v6
	v_cndmask_b32_e32 v6, v8, v10, vcc
	v_lshrrev_b32_e32 v7, 16, v7
	v_mul_f64 v[0:1], v[0:1], s[14:15]
	v_add_co_u32_e32 v4, vcc, s10, v4
	v_and_or_b32 v6, v7, s18, v6
	v_and_b32_e32 v2, 0xffff, v2
	v_addc_co_u32_e32 v5, vcc, v5, v3, vcc
	v_lshl_or_b32 v2, v6, 16, v2
	v_and_or_b32 v0, v1, s19, v0
	v_cmp_ne_u32_e32 vcc, 0, v0
	global_store_dword v[4:5], v2, off
	v_cndmask_b32_e64 v0, 0, 1, vcc
	v_lshrrev_b32_e32 v2, 8, v1
	v_bfe_u32 v6, v1, 20, 11
	v_and_or_b32 v0, v2, s16, v0
	v_sub_u32_e32 v7, 0x3f1, v6
	v_or_b32_e32 v2, 0x1000, v0
	v_med3_i32 v7, v7, 0, 13
	v_lshrrev_b32_e32 v8, v7, v2
	v_lshlrev_b32_e32 v7, v7, v8
	v_cmp_ne_u32_e32 vcc, v7, v2
	v_mul_f16_sdwa v7, v60, v12 dst_sel:DWORD dst_unused:UNUSED_PAD src0_sel:WORD_1 src1_sel:DWORD
	v_cndmask_b32_e64 v2, 0, 1, vcc
	v_fma_f16 v7, v60, v9, -v7
	v_or_b32_e32 v2, v8, v2
	v_add_u32_e32 v8, 0xfffffc10, v6
	v_cvt_f32_f16_e32 v7, v7
	v_lshl_or_b32 v6, v8, 12, v0
	v_cmp_gt_i32_e32 vcc, 1, v8
	v_cndmask_b32_e32 v2, v6, v2, vcc
	v_and_b32_e32 v6, 7, v2
	v_cmp_lt_i32_e32 vcc, 5, v6
	v_cmp_eq_u32_e64 s[2:3], 3, v6
	v_cvt_f64_f32_e32 v[6:7], v7
	v_lshrrev_b32_e32 v2, 2, v2
	s_or_b64 vcc, s[2:3], vcc
	v_addc_co_u32_e32 v2, vcc, 0, v2, vcc
	v_mul_f64 v[6:7], v[6:7], s[14:15]
	v_cmp_gt_i32_e32 vcc, 31, v8
	v_cndmask_b32_e32 v2, v15, v2, vcc
	v_cmp_ne_u32_e32 vcc, 0, v0
	v_cndmask_b32_e64 v0, 0, 1, vcc
	v_lshl_or_b32 v0, v0, 9, v15
	v_cmp_eq_u32_e32 vcc, s17, v8
	v_cndmask_b32_e32 v0, v2, v0, vcc
	v_lshrrev_b32_e32 v1, 16, v1
	v_and_or_b32 v2, v1, s18, v0
	v_and_or_b32 v0, v7, s19, v6
	v_cmp_ne_u32_e32 vcc, 0, v0
	v_cndmask_b32_e64 v0, 0, 1, vcc
	v_lshrrev_b32_e32 v1, 8, v7
	v_bfe_u32 v6, v7, 20, 11
	v_and_or_b32 v0, v1, s16, v0
	v_sub_u32_e32 v8, 0x3f1, v6
	v_or_b32_e32 v1, 0x1000, v0
	v_med3_i32 v8, v8, 0, 13
	v_lshrrev_b32_e32 v9, v8, v1
	v_lshlrev_b32_e32 v8, v8, v9
	v_cmp_ne_u32_e32 vcc, v8, v1
	v_cndmask_b32_e64 v1, 0, 1, vcc
	v_add_u32_e32 v6, 0xfffffc10, v6
	v_or_b32_e32 v1, v9, v1
	v_lshl_or_b32 v8, v6, 12, v0
	v_cmp_gt_i32_e32 vcc, 1, v6
	v_cndmask_b32_e32 v1, v8, v1, vcc
	v_and_b32_e32 v8, 7, v1
	v_cmp_lt_i32_e32 vcc, 5, v8
	v_cmp_eq_u32_e64 s[2:3], 3, v8
	v_lshrrev_b32_e32 v1, 2, v1
	s_or_b64 vcc, s[2:3], vcc
	v_addc_co_u32_e32 v1, vcc, 0, v1, vcc
	v_cmp_gt_i32_e32 vcc, 31, v6
	v_lshrrev_b32_e32 v9, 16, v14
	v_cndmask_b32_e32 v8, v15, v1, vcc
	v_mul_f16_sdwa v1, v58, v9 dst_sel:DWORD dst_unused:UNUSED_PAD src0_sel:WORD_1 src1_sel:DWORD
	v_fma_f16 v1, v58, v14, v1
	v_cvt_f32_f16_e32 v1, v1
	v_cmp_ne_u32_e32 vcc, 0, v0
	v_cndmask_b32_e64 v0, 0, 1, vcc
	v_lshl_or_b32 v10, v0, 9, v15
	v_cvt_f64_f32_e32 v[0:1], v1
	v_cmp_eq_u32_e32 vcc, s17, v6
	v_cndmask_b32_e32 v6, v8, v10, vcc
	v_lshrrev_b32_e32 v7, 16, v7
	v_mul_f64 v[0:1], v[0:1], s[14:15]
	v_add_co_u32_e32 v4, vcc, s10, v4
	v_and_or_b32 v6, v7, s18, v6
	v_and_b32_e32 v2, 0xffff, v2
	v_addc_co_u32_e32 v5, vcc, v5, v3, vcc
	v_lshl_or_b32 v2, v6, 16, v2
	v_and_or_b32 v0, v1, s19, v0
	v_cmp_ne_u32_e32 vcc, 0, v0
	global_store_dword v[4:5], v2, off
	v_cndmask_b32_e64 v0, 0, 1, vcc
	v_lshrrev_b32_e32 v2, 8, v1
	v_bfe_u32 v6, v1, 20, 11
	v_and_or_b32 v0, v2, s16, v0
	v_sub_u32_e32 v7, 0x3f1, v6
	v_or_b32_e32 v2, 0x1000, v0
	v_med3_i32 v7, v7, 0, 13
	v_lshrrev_b32_e32 v8, v7, v2
	v_lshlrev_b32_e32 v7, v7, v8
	v_cmp_ne_u32_e32 vcc, v7, v2
	v_mul_f16_sdwa v7, v58, v14 dst_sel:DWORD dst_unused:UNUSED_PAD src0_sel:WORD_1 src1_sel:DWORD
	v_cndmask_b32_e64 v2, 0, 1, vcc
	v_fma_f16 v7, v58, v9, -v7
	v_or_b32_e32 v2, v8, v2
	v_add_u32_e32 v8, 0xfffffc10, v6
	v_cvt_f32_f16_e32 v7, v7
	v_lshl_or_b32 v6, v8, 12, v0
	v_cmp_gt_i32_e32 vcc, 1, v8
	v_cndmask_b32_e32 v2, v6, v2, vcc
	v_and_b32_e32 v6, 7, v2
	v_cmp_lt_i32_e32 vcc, 5, v6
	v_cmp_eq_u32_e64 s[2:3], 3, v6
	v_cvt_f64_f32_e32 v[6:7], v7
	v_lshrrev_b32_e32 v2, 2, v2
	s_or_b64 vcc, s[2:3], vcc
	v_addc_co_u32_e32 v2, vcc, 0, v2, vcc
	v_mul_f64 v[6:7], v[6:7], s[14:15]
	v_cmp_gt_i32_e32 vcc, 31, v8
	v_cndmask_b32_e32 v2, v15, v2, vcc
	v_cmp_ne_u32_e32 vcc, 0, v0
	v_cndmask_b32_e64 v0, 0, 1, vcc
	v_lshl_or_b32 v0, v0, 9, v15
	v_cmp_eq_u32_e32 vcc, s17, v8
	v_cndmask_b32_e32 v0, v2, v0, vcc
	v_lshrrev_b32_e32 v1, 16, v1
	v_and_or_b32 v0, v1, s18, v0
	v_and_or_b32 v1, v7, s19, v6
	v_cmp_ne_u32_e32 vcc, 0, v1
	v_cndmask_b32_e64 v1, 0, 1, vcc
	v_lshrrev_b32_e32 v2, 8, v7
	v_bfe_u32 v6, v7, 20, 11
	v_and_or_b32 v1, v2, s16, v1
	v_sub_u32_e32 v8, 0x3f1, v6
	v_or_b32_e32 v2, 0x1000, v1
	v_med3_i32 v8, v8, 0, 13
	v_lshrrev_b32_e32 v9, v8, v2
	v_lshlrev_b32_e32 v8, v8, v9
	v_cmp_ne_u32_e32 vcc, v8, v2
	v_cndmask_b32_e64 v2, 0, 1, vcc
	v_add_u32_e32 v6, 0xfffffc10, v6
	v_or_b32_e32 v2, v9, v2
	v_lshl_or_b32 v8, v6, 12, v1
	v_cmp_gt_i32_e32 vcc, 1, v6
	v_cndmask_b32_e32 v2, v8, v2, vcc
	v_and_b32_e32 v8, 7, v2
	v_cmp_lt_i32_e32 vcc, 5, v8
	v_cmp_eq_u32_e64 s[2:3], 3, v8
	v_lshrrev_b32_e32 v2, 2, v2
	s_or_b64 vcc, s[2:3], vcc
	v_addc_co_u32_e32 v2, vcc, 0, v2, vcc
	v_cmp_gt_i32_e32 vcc, 31, v6
	v_cndmask_b32_e32 v2, v15, v2, vcc
	v_cmp_ne_u32_e32 vcc, 0, v1
	v_cndmask_b32_e64 v1, 0, 1, vcc
	v_lshl_or_b32 v1, v1, 9, v15
	v_cmp_eq_u32_e32 vcc, s17, v6
	v_cndmask_b32_e32 v1, v2, v1, vcc
	v_lshrrev_b32_e32 v2, 16, v7
	v_and_or_b32 v1, v2, s18, v1
	v_and_b32_e32 v0, 0xffff, v0
	v_lshl_or_b32 v2, v1, 16, v0
	v_add_co_u32_e32 v0, vcc, s10, v4
	v_addc_co_u32_e32 v1, vcc, v5, v3, vcc
	global_store_dword v[0:1], v2, off
	s_and_b64 exec, exec, s[0:1]
	s_cbranch_execz .LBB0_15
; %bb.14:
	global_load_dword v4, v59, s[6:7]
	ds_read2st64_b32 v[2:3], v57 offset0:16 offset1:36
	v_mov_b32_e32 v9, s5
	v_add_co_u32_e32 v8, vcc, s4, v0
	v_addc_co_u32_e32 v9, vcc, v1, v9, vcc
	s_waitcnt lgkmcnt(0)
	v_lshrrev_b32_e32 v5, 16, v2
	s_movk_i32 s0, 0x2000
	s_waitcnt vmcnt(0)
	v_mul_f16_sdwa v6, v5, v4 dst_sel:DWORD dst_unused:UNUSED_PAD src0_sel:DWORD src1_sel:WORD_1
	v_fma_f16 v6, v2, v4, v6
	v_mul_f16_sdwa v2, v2, v4 dst_sel:DWORD dst_unused:UNUSED_PAD src0_sel:DWORD src1_sel:WORD_1
	v_cvt_f32_f16_e32 v6, v6
	v_fma_f16 v2, v4, v5, -v2
	v_cvt_f32_f16_e32 v2, v2
	v_cvt_f64_f32_e32 v[4:5], v6
	v_cvt_f64_f32_e32 v[6:7], v2
	v_mul_f64 v[4:5], v[4:5], s[14:15]
	v_mul_f64 v[0:1], v[6:7], s[14:15]
	v_add_co_u32_e32 v6, vcc, s0, v55
	v_addc_co_u32_e32 v7, vcc, 0, v56, vcc
	v_and_or_b32 v2, v5, s19, v4
	v_cmp_ne_u32_e32 vcc, 0, v2
	v_and_or_b32 v0, v1, s19, v0
	v_lshrrev_b32_e32 v4, 8, v5
	v_bfe_u32 v10, v5, 20, 11
	v_cndmask_b32_e64 v2, 0, 1, vcc
	v_cmp_ne_u32_e32 vcc, 0, v0
	v_lshrrev_b32_e32 v11, 8, v1
	v_bfe_u32 v12, v1, 20, 11
	v_sub_u32_e32 v13, 0x3f1, v10
	v_cndmask_b32_e64 v0, 0, 1, vcc
	v_and_or_b32 v2, v4, s16, v2
	v_sub_u32_e32 v14, 0x3f1, v12
	v_med3_i32 v4, v13, 0, 13
	v_and_or_b32 v0, v11, s16, v0
	v_or_b32_e32 v13, 0x1000, v2
	v_add_u32_e32 v10, 0xfffffc10, v10
	v_med3_i32 v11, v14, 0, 13
	v_cmp_ne_u32_e32 vcc, 0, v2
	v_or_b32_e32 v16, 0x1000, v0
	v_lshrrev_b32_e32 v18, v4, v13
	v_add_u32_e32 v12, 0xfffffc10, v12
	v_lshl_or_b32 v14, v10, 12, v2
	v_cndmask_b32_e64 v2, 0, 1, vcc
	v_cmp_ne_u32_e32 vcc, 0, v0
	v_lshrrev_b32_e32 v19, v11, v16
	v_lshlrev_b32_e32 v4, v4, v18
	v_lshl_or_b32 v17, v12, 12, v0
	v_cndmask_b32_e64 v0, 0, 1, vcc
	v_lshlrev_b32_e32 v11, v11, v19
	v_cmp_ne_u32_e32 vcc, v4, v13
	v_cndmask_b32_e64 v4, 0, 1, vcc
	v_cmp_ne_u32_e32 vcc, v11, v16
	v_cndmask_b32_e64 v11, 0, 1, vcc
	v_or_b32_e32 v4, v18, v4
	v_cmp_gt_i32_e32 vcc, 1, v10
	v_cndmask_b32_e32 v4, v14, v4, vcc
	v_or_b32_e32 v11, v19, v11
	v_cmp_gt_i32_e32 vcc, 1, v12
	v_and_b32_e32 v13, 7, v4
	v_cndmask_b32_e32 v11, v17, v11, vcc
	v_cmp_lt_i32_e32 vcc, 5, v13
	v_cmp_eq_u32_e64 s[0:1], 3, v13
	v_lshrrev_b32_e32 v4, 2, v4
	v_and_b32_e32 v14, 7, v11
	s_or_b64 vcc, s[0:1], vcc
	v_cmp_lt_i32_e64 s[2:3], 5, v14
	v_cmp_eq_u32_e64 s[4:5], 3, v14
	v_addc_co_u32_e32 v4, vcc, 0, v4, vcc
	v_lshrrev_b32_e32 v11, 2, v11
	s_or_b64 vcc, s[4:5], s[2:3]
	v_addc_co_u32_e32 v11, vcc, 0, v11, vcc
	v_cmp_gt_i32_e32 vcc, 31, v10
	v_cndmask_b32_e32 v4, v15, v4, vcc
	v_cmp_gt_i32_e32 vcc, 31, v12
	v_lshl_or_b32 v2, v2, 9, v15
	v_cndmask_b32_e32 v11, v15, v11, vcc
	v_cmp_eq_u32_e32 vcc, s17, v10
	v_lshrrev_b32_e32 v5, 16, v5
	v_lshl_or_b32 v0, v0, 9, v15
	v_cndmask_b32_e32 v2, v4, v2, vcc
	v_cmp_eq_u32_e32 vcc, s17, v12
	v_lshrrev_b32_e32 v1, 16, v1
	v_cndmask_b32_e32 v0, v11, v0, vcc
	v_and_or_b32 v2, v5, s18, v2
	v_and_or_b32 v0, v1, s18, v0
	v_and_b32_e32 v1, 0xffff, v2
	v_lshl_or_b32 v0, v0, 16, v1
	global_store_dword v[8:9], v0, off
	global_load_dword v0, v[6:7], off offset:1024
	v_lshrrev_b32_e32 v1, 16, v3
	v_add_co_u32_e32 v6, vcc, s10, v8
	s_waitcnt vmcnt(0)
	v_mul_f16_sdwa v2, v1, v0 dst_sel:DWORD dst_unused:UNUSED_PAD src0_sel:DWORD src1_sel:WORD_1
	v_fma_f16 v2, v3, v0, v2
	v_mul_f16_sdwa v3, v3, v0 dst_sel:DWORD dst_unused:UNUSED_PAD src0_sel:DWORD src1_sel:WORD_1
	v_cvt_f32_f16_e32 v2, v2
	v_fma_f16 v0, v0, v1, -v3
	v_cvt_f32_f16_e32 v3, v0
	v_cvt_f64_f32_e32 v[0:1], v2
	v_cvt_f64_f32_e32 v[2:3], v3
	v_mul_f64 v[4:5], v[0:1], s[14:15]
	v_mov_b32_e32 v0, s11
	v_mul_f64 v[1:2], v[2:3], s[14:15]
	v_addc_co_u32_e32 v7, vcc, v9, v0, vcc
	v_and_or_b32 v3, v5, s19, v4
	v_cmp_ne_u32_e32 vcc, 0, v3
	v_and_or_b32 v1, v2, s19, v1
	v_lshrrev_b32_e32 v4, 8, v5
	v_bfe_u32 v8, v5, 20, 11
	v_cndmask_b32_e64 v3, 0, 1, vcc
	v_cmp_ne_u32_e32 vcc, 0, v1
	v_lshrrev_b32_e32 v9, 8, v2
	v_bfe_u32 v10, v2, 20, 11
	v_sub_u32_e32 v11, 0x3f1, v8
	v_cndmask_b32_e64 v1, 0, 1, vcc
	v_and_or_b32 v3, v4, s16, v3
	v_sub_u32_e32 v12, 0x3f1, v10
	v_med3_i32 v4, v11, 0, 13
	v_and_or_b32 v1, v9, s16, v1
	v_or_b32_e32 v11, 0x1000, v3
	v_add_u32_e32 v8, 0xfffffc10, v8
	v_med3_i32 v9, v12, 0, 13
	v_cmp_ne_u32_e32 vcc, 0, v3
	v_or_b32_e32 v13, 0x1000, v1
	v_lshrrev_b32_e32 v16, v4, v11
	v_add_u32_e32 v10, 0xfffffc10, v10
	v_lshl_or_b32 v12, v8, 12, v3
	v_cndmask_b32_e64 v3, 0, 1, vcc
	v_cmp_ne_u32_e32 vcc, 0, v1
	v_lshrrev_b32_e32 v17, v9, v13
	v_lshlrev_b32_e32 v4, v4, v16
	v_lshl_or_b32 v14, v10, 12, v1
	v_cndmask_b32_e64 v1, 0, 1, vcc
	v_lshlrev_b32_e32 v9, v9, v17
	v_cmp_ne_u32_e32 vcc, v4, v11
	v_cndmask_b32_e64 v4, 0, 1, vcc
	v_cmp_ne_u32_e32 vcc, v9, v13
	v_cndmask_b32_e64 v9, 0, 1, vcc
	v_or_b32_e32 v4, v16, v4
	v_cmp_gt_i32_e32 vcc, 1, v8
	v_cndmask_b32_e32 v4, v12, v4, vcc
	v_or_b32_e32 v9, v17, v9
	v_cmp_gt_i32_e32 vcc, 1, v10
	v_and_b32_e32 v11, 7, v4
	v_cndmask_b32_e32 v9, v14, v9, vcc
	v_cmp_lt_i32_e32 vcc, 5, v11
	v_cmp_eq_u32_e64 s[0:1], 3, v11
	v_lshrrev_b32_e32 v4, 2, v4
	v_and_b32_e32 v12, 7, v9
	s_or_b64 vcc, s[0:1], vcc
	v_cmp_lt_i32_e64 s[2:3], 5, v12
	v_cmp_eq_u32_e64 s[4:5], 3, v12
	v_addc_co_u32_e32 v4, vcc, 0, v4, vcc
	v_lshrrev_b32_e32 v9, 2, v9
	s_or_b64 vcc, s[4:5], s[2:3]
	v_addc_co_u32_e32 v9, vcc, 0, v9, vcc
	v_cmp_gt_i32_e32 vcc, 31, v8
	v_cndmask_b32_e32 v4, v15, v4, vcc
	v_cmp_gt_i32_e32 vcc, 31, v10
	v_lshl_or_b32 v3, v3, 9, v15
	v_cndmask_b32_e32 v9, v15, v9, vcc
	v_cmp_eq_u32_e32 vcc, s17, v8
	v_lshrrev_b32_e32 v5, 16, v5
	v_lshl_or_b32 v1, v1, 9, v15
	v_cndmask_b32_e32 v3, v4, v3, vcc
	v_cmp_eq_u32_e32 vcc, s17, v10
	v_lshrrev_b32_e32 v2, 16, v2
	v_cndmask_b32_e32 v1, v9, v1, vcc
	v_and_or_b32 v3, v5, s18, v3
	v_and_or_b32 v1, v2, s18, v1
	v_and_b32_e32 v2, 0xffff, v3
	v_lshl_or_b32 v1, v1, 16, v2
	global_store_dword v[6:7], v1, off
	global_load_dword v3, v77, s[6:7]
	ds_read2st64_b32 v[1:2], v57 offset0:56 offset1:76
	s_movk_i32 s0, 0x4000
	v_add_co_u32_e32 v10, vcc, s0, v55
	v_addc_co_u32_e32 v11, vcc, 0, v56, vcc
	s_waitcnt lgkmcnt(0)
	v_lshrrev_b32_e32 v4, 16, v1
	s_waitcnt vmcnt(0)
	v_mul_f16_sdwa v5, v4, v3 dst_sel:DWORD dst_unused:UNUSED_PAD src0_sel:DWORD src1_sel:WORD_1
	v_fma_f16 v5, v1, v3, v5
	v_mul_f16_sdwa v1, v1, v3 dst_sel:DWORD dst_unused:UNUSED_PAD src0_sel:DWORD src1_sel:WORD_1
	v_cvt_f32_f16_e32 v5, v5
	v_fma_f16 v1, v3, v4, -v1
	v_cvt_f32_f16_e32 v1, v1
	v_cvt_f64_f32_e32 v[3:4], v5
	v_add_co_u32_e32 v5, vcc, s10, v6
	v_cvt_f64_f32_e32 v[8:9], v1
	v_mul_f64 v[3:4], v[3:4], s[14:15]
	v_addc_co_u32_e32 v6, vcc, v7, v0, vcc
	v_mul_f64 v[8:9], v[8:9], s[14:15]
	v_and_or_b32 v1, v4, s19, v3
	v_cmp_ne_u32_e32 vcc, 0, v1
	v_lshrrev_b32_e32 v3, 8, v4
	v_and_or_b32 v8, v9, s19, v8
	v_bfe_u32 v7, v4, 20, 11
	v_cndmask_b32_e64 v1, 0, 1, vcc
	v_cmp_ne_u32_e32 vcc, 0, v8
	v_lshrrev_b32_e32 v12, 8, v9
	v_bfe_u32 v13, v9, 20, 11
	v_sub_u32_e32 v14, 0x3f1, v7
	v_cndmask_b32_e64 v8, 0, 1, vcc
	v_and_or_b32 v1, v3, s16, v1
	v_sub_u32_e32 v16, 0x3f1, v13
	v_med3_i32 v3, v14, 0, 13
	v_and_or_b32 v8, v12, s16, v8
	v_or_b32_e32 v14, 0x1000, v1
	v_add_u32_e32 v7, 0xfffffc10, v7
	v_med3_i32 v12, v16, 0, 13
	v_cmp_ne_u32_e32 vcc, 0, v1
	v_or_b32_e32 v17, 0x1000, v8
	v_lshrrev_b32_e32 v19, v3, v14
	v_add_u32_e32 v13, 0xfffffc10, v13
	v_lshl_or_b32 v16, v7, 12, v1
	v_cndmask_b32_e64 v1, 0, 1, vcc
	v_cmp_ne_u32_e32 vcc, 0, v8
	v_lshrrev_b32_e32 v20, v12, v17
	v_lshlrev_b32_e32 v3, v3, v19
	v_lshl_or_b32 v18, v13, 12, v8
	v_cndmask_b32_e64 v8, 0, 1, vcc
	v_lshlrev_b32_e32 v12, v12, v20
	v_cmp_ne_u32_e32 vcc, v3, v14
	v_cndmask_b32_e64 v3, 0, 1, vcc
	v_cmp_ne_u32_e32 vcc, v12, v17
	v_cndmask_b32_e64 v12, 0, 1, vcc
	v_or_b32_e32 v3, v19, v3
	v_cmp_gt_i32_e32 vcc, 1, v7
	v_cndmask_b32_e32 v3, v16, v3, vcc
	v_or_b32_e32 v12, v20, v12
	v_cmp_gt_i32_e32 vcc, 1, v13
	v_and_b32_e32 v14, 7, v3
	v_cndmask_b32_e32 v12, v18, v12, vcc
	v_cmp_lt_i32_e32 vcc, 5, v14
	v_cmp_eq_u32_e64 s[0:1], 3, v14
	v_lshrrev_b32_e32 v3, 2, v3
	v_and_b32_e32 v16, 7, v12
	s_or_b64 vcc, s[0:1], vcc
	v_cmp_lt_i32_e64 s[2:3], 5, v16
	v_cmp_eq_u32_e64 s[4:5], 3, v16
	v_addc_co_u32_e32 v3, vcc, 0, v3, vcc
	v_lshrrev_b32_e32 v12, 2, v12
	s_or_b64 vcc, s[4:5], s[2:3]
	v_addc_co_u32_e32 v12, vcc, 0, v12, vcc
	v_cmp_gt_i32_e32 vcc, 31, v7
	v_cndmask_b32_e32 v3, v15, v3, vcc
	v_cmp_gt_i32_e32 vcc, 31, v13
	v_lshl_or_b32 v1, v1, 9, v15
	v_cndmask_b32_e32 v12, v15, v12, vcc
	v_cmp_eq_u32_e32 vcc, s17, v7
	v_lshrrev_b32_e32 v4, 16, v4
	v_lshl_or_b32 v8, v8, 9, v15
	v_cndmask_b32_e32 v1, v3, v1, vcc
	v_cmp_eq_u32_e32 vcc, s17, v13
	v_lshrrev_b32_e32 v9, 16, v9
	v_cndmask_b32_e32 v3, v12, v8, vcc
	v_and_or_b32 v1, v4, s18, v1
	v_and_or_b32 v3, v9, s18, v3
	v_and_b32_e32 v1, 0xffff, v1
	v_lshl_or_b32 v1, v3, 16, v1
	global_store_dword v[5:6], v1, off
	global_load_dword v1, v[10:11], off offset:3072
	v_lshrrev_b32_e32 v3, 16, v2
	v_add_co_u32_e32 v5, vcc, s10, v5
	v_addc_co_u32_e32 v6, vcc, v6, v0, vcc
	s_waitcnt vmcnt(0)
	v_mul_f16_sdwa v4, v3, v1 dst_sel:DWORD dst_unused:UNUSED_PAD src0_sel:DWORD src1_sel:WORD_1
	v_fma_f16 v4, v2, v1, v4
	v_mul_f16_sdwa v2, v2, v1 dst_sel:DWORD dst_unused:UNUSED_PAD src0_sel:DWORD src1_sel:WORD_1
	v_cvt_f32_f16_e32 v4, v4
	v_fma_f16 v1, v1, v3, -v2
	v_cvt_f32_f16_e32 v3, v1
	v_cvt_f64_f32_e32 v[1:2], v4
	v_cvt_f64_f32_e32 v[3:4], v3
	v_mul_f64 v[1:2], v[1:2], s[14:15]
	v_mul_f64 v[3:4], v[3:4], s[14:15]
	v_and_or_b32 v1, v2, s19, v1
	v_cmp_ne_u32_e32 vcc, 0, v1
	v_and_or_b32 v3, v4, s19, v3
	v_lshrrev_b32_e32 v7, 8, v2
	v_bfe_u32 v8, v2, 20, 11
	v_cndmask_b32_e64 v1, 0, 1, vcc
	v_cmp_ne_u32_e32 vcc, 0, v3
	v_lshrrev_b32_e32 v9, 8, v4
	v_bfe_u32 v10, v4, 20, 11
	v_sub_u32_e32 v11, 0x3f1, v8
	v_cndmask_b32_e64 v3, 0, 1, vcc
	v_and_or_b32 v1, v7, s16, v1
	v_sub_u32_e32 v12, 0x3f1, v10
	v_med3_i32 v7, v11, 0, 13
	v_and_or_b32 v3, v9, s16, v3
	v_or_b32_e32 v11, 0x1000, v1
	v_add_u32_e32 v8, 0xfffffc10, v8
	v_med3_i32 v9, v12, 0, 13
	v_cmp_ne_u32_e32 vcc, 0, v1
	v_or_b32_e32 v13, 0x1000, v3
	v_lshrrev_b32_e32 v16, v7, v11
	v_add_u32_e32 v10, 0xfffffc10, v10
	v_lshl_or_b32 v12, v8, 12, v1
	v_cndmask_b32_e64 v1, 0, 1, vcc
	v_cmp_ne_u32_e32 vcc, 0, v3
	v_lshrrev_b32_e32 v17, v9, v13
	v_lshlrev_b32_e32 v7, v7, v16
	v_lshl_or_b32 v14, v10, 12, v3
	v_cndmask_b32_e64 v3, 0, 1, vcc
	v_lshlrev_b32_e32 v9, v9, v17
	v_cmp_ne_u32_e32 vcc, v7, v11
	v_cndmask_b32_e64 v7, 0, 1, vcc
	v_cmp_ne_u32_e32 vcc, v9, v13
	v_cndmask_b32_e64 v9, 0, 1, vcc
	v_or_b32_e32 v7, v16, v7
	v_cmp_gt_i32_e32 vcc, 1, v8
	v_cndmask_b32_e32 v7, v12, v7, vcc
	v_or_b32_e32 v9, v17, v9
	v_cmp_gt_i32_e32 vcc, 1, v10
	v_and_b32_e32 v11, 7, v7
	v_cndmask_b32_e32 v9, v14, v9, vcc
	v_cmp_lt_i32_e32 vcc, 5, v11
	v_cmp_eq_u32_e64 s[0:1], 3, v11
	v_lshrrev_b32_e32 v7, 2, v7
	v_and_b32_e32 v12, 7, v9
	s_or_b64 vcc, s[0:1], vcc
	v_cmp_lt_i32_e64 s[2:3], 5, v12
	v_cmp_eq_u32_e64 s[4:5], 3, v12
	v_addc_co_u32_e32 v7, vcc, 0, v7, vcc
	v_lshrrev_b32_e32 v9, 2, v9
	s_or_b64 vcc, s[4:5], s[2:3]
	v_addc_co_u32_e32 v9, vcc, 0, v9, vcc
	v_cmp_gt_i32_e32 vcc, 31, v8
	v_cndmask_b32_e32 v7, v15, v7, vcc
	v_cmp_gt_i32_e32 vcc, 31, v10
	v_lshl_or_b32 v1, v1, 9, v15
	v_cndmask_b32_e32 v9, v15, v9, vcc
	v_cmp_eq_u32_e32 vcc, s17, v8
	v_lshrrev_b32_e32 v2, 16, v2
	v_lshl_or_b32 v3, v3, 9, v15
	v_cndmask_b32_e32 v1, v7, v1, vcc
	v_cmp_eq_u32_e32 vcc, s17, v10
	v_lshrrev_b32_e32 v4, 16, v4
	v_cndmask_b32_e32 v3, v9, v3, vcc
	v_and_or_b32 v1, v2, s18, v1
	v_and_or_b32 v2, v4, s18, v3
	v_and_b32_e32 v1, 0xffff, v1
	v_lshl_or_b32 v1, v2, 16, v1
	global_store_dword v[5:6], v1, off
	global_load_dword v3, v76, s[6:7]
	ds_read2st64_b32 v[1:2], v57 offset0:96 offset1:116
	s_movk_i32 s0, 0x7000
	v_add_co_u32_e32 v9, vcc, s0, v55
	v_addc_co_u32_e32 v10, vcc, 0, v56, vcc
	s_waitcnt lgkmcnt(0)
	v_lshrrev_b32_e32 v4, 16, v1
	v_add_co_u32_e32 v5, vcc, s10, v5
	v_addc_co_u32_e32 v6, vcc, v6, v0, vcc
	s_waitcnt vmcnt(0)
	v_mul_f16_sdwa v7, v4, v3 dst_sel:DWORD dst_unused:UNUSED_PAD src0_sel:DWORD src1_sel:WORD_1
	v_fma_f16 v7, v1, v3, v7
	v_mul_f16_sdwa v1, v1, v3 dst_sel:DWORD dst_unused:UNUSED_PAD src0_sel:DWORD src1_sel:WORD_1
	v_cvt_f32_f16_e32 v7, v7
	v_fma_f16 v1, v3, v4, -v1
	v_cvt_f32_f16_e32 v1, v1
	v_cvt_f64_f32_e32 v[3:4], v7
	v_cvt_f64_f32_e32 v[7:8], v1
	v_mul_f64 v[3:4], v[3:4], s[14:15]
	v_mul_f64 v[7:8], v[7:8], s[14:15]
	v_and_or_b32 v1, v4, s19, v3
	v_cmp_ne_u32_e32 vcc, 0, v1
	v_and_or_b32 v7, v8, s19, v7
	v_lshrrev_b32_e32 v3, 8, v4
	v_bfe_u32 v11, v4, 20, 11
	v_cndmask_b32_e64 v1, 0, 1, vcc
	v_cmp_ne_u32_e32 vcc, 0, v7
	v_lshrrev_b32_e32 v12, 8, v8
	v_bfe_u32 v13, v8, 20, 11
	v_sub_u32_e32 v14, 0x3f1, v11
	v_cndmask_b32_e64 v7, 0, 1, vcc
	v_and_or_b32 v1, v3, s16, v1
	v_sub_u32_e32 v16, 0x3f1, v13
	v_med3_i32 v3, v14, 0, 13
	v_and_or_b32 v7, v12, s16, v7
	v_or_b32_e32 v14, 0x1000, v1
	v_add_u32_e32 v11, 0xfffffc10, v11
	v_med3_i32 v12, v16, 0, 13
	v_cmp_ne_u32_e32 vcc, 0, v1
	v_or_b32_e32 v17, 0x1000, v7
	v_lshrrev_b32_e32 v19, v3, v14
	v_add_u32_e32 v13, 0xfffffc10, v13
	v_lshl_or_b32 v16, v11, 12, v1
	v_cndmask_b32_e64 v1, 0, 1, vcc
	v_cmp_ne_u32_e32 vcc, 0, v7
	v_lshrrev_b32_e32 v20, v12, v17
	v_lshlrev_b32_e32 v3, v3, v19
	v_lshl_or_b32 v18, v13, 12, v7
	v_cndmask_b32_e64 v7, 0, 1, vcc
	v_lshlrev_b32_e32 v12, v12, v20
	v_cmp_ne_u32_e32 vcc, v3, v14
	v_cndmask_b32_e64 v3, 0, 1, vcc
	v_cmp_ne_u32_e32 vcc, v12, v17
	v_cndmask_b32_e64 v12, 0, 1, vcc
	v_or_b32_e32 v3, v19, v3
	v_cmp_gt_i32_e32 vcc, 1, v11
	v_cndmask_b32_e32 v3, v16, v3, vcc
	v_or_b32_e32 v12, v20, v12
	v_cmp_gt_i32_e32 vcc, 1, v13
	v_and_b32_e32 v14, 7, v3
	v_cndmask_b32_e32 v12, v18, v12, vcc
	v_cmp_lt_i32_e32 vcc, 5, v14
	v_cmp_eq_u32_e64 s[0:1], 3, v14
	v_lshrrev_b32_e32 v3, 2, v3
	v_and_b32_e32 v16, 7, v12
	s_or_b64 vcc, s[0:1], vcc
	v_cmp_lt_i32_e64 s[2:3], 5, v16
	v_cmp_eq_u32_e64 s[4:5], 3, v16
	v_addc_co_u32_e32 v3, vcc, 0, v3, vcc
	v_lshrrev_b32_e32 v12, 2, v12
	s_or_b64 vcc, s[4:5], s[2:3]
	v_addc_co_u32_e32 v12, vcc, 0, v12, vcc
	v_cmp_gt_i32_e32 vcc, 31, v11
	v_cndmask_b32_e32 v3, v15, v3, vcc
	v_cmp_gt_i32_e32 vcc, 31, v13
	v_lshl_or_b32 v1, v1, 9, v15
	v_cndmask_b32_e32 v12, v15, v12, vcc
	v_cmp_eq_u32_e32 vcc, s17, v11
	v_lshrrev_b32_e32 v4, 16, v4
	v_lshl_or_b32 v7, v7, 9, v15
	v_cndmask_b32_e32 v1, v3, v1, vcc
	v_cmp_eq_u32_e32 vcc, s17, v13
	v_lshrrev_b32_e32 v8, 16, v8
	v_cndmask_b32_e32 v3, v12, v7, vcc
	v_and_or_b32 v1, v4, s18, v1
	v_and_or_b32 v3, v8, s18, v3
	v_and_b32_e32 v1, 0xffff, v1
	v_lshl_or_b32 v1, v3, 16, v1
	global_store_dword v[5:6], v1, off
	global_load_dword v1, v[9:10], off offset:1024
	v_lshrrev_b32_e32 v3, 16, v2
	v_add_co_u32_e32 v5, vcc, s10, v5
	v_addc_co_u32_e32 v6, vcc, v6, v0, vcc
	s_waitcnt vmcnt(0)
	v_mul_f16_sdwa v4, v3, v1 dst_sel:DWORD dst_unused:UNUSED_PAD src0_sel:DWORD src1_sel:WORD_1
	v_fma_f16 v4, v2, v1, v4
	v_mul_f16_sdwa v2, v2, v1 dst_sel:DWORD dst_unused:UNUSED_PAD src0_sel:DWORD src1_sel:WORD_1
	v_cvt_f32_f16_e32 v4, v4
	v_fma_f16 v1, v1, v3, -v2
	v_cvt_f32_f16_e32 v3, v1
	v_cvt_f64_f32_e32 v[1:2], v4
	v_cvt_f64_f32_e32 v[3:4], v3
	v_mul_f64 v[1:2], v[1:2], s[14:15]
	v_mul_f64 v[3:4], v[3:4], s[14:15]
	v_and_or_b32 v1, v2, s19, v1
	v_cmp_ne_u32_e32 vcc, 0, v1
	v_and_or_b32 v3, v4, s19, v3
	v_lshrrev_b32_e32 v7, 8, v2
	v_bfe_u32 v8, v2, 20, 11
	v_cndmask_b32_e64 v1, 0, 1, vcc
	v_cmp_ne_u32_e32 vcc, 0, v3
	v_lshrrev_b32_e32 v9, 8, v4
	v_bfe_u32 v10, v4, 20, 11
	v_sub_u32_e32 v11, 0x3f1, v8
	v_cndmask_b32_e64 v3, 0, 1, vcc
	v_and_or_b32 v1, v7, s16, v1
	v_sub_u32_e32 v12, 0x3f1, v10
	v_med3_i32 v7, v11, 0, 13
	v_and_or_b32 v3, v9, s16, v3
	v_or_b32_e32 v11, 0x1000, v1
	v_add_u32_e32 v8, 0xfffffc10, v8
	v_med3_i32 v9, v12, 0, 13
	v_cmp_ne_u32_e32 vcc, 0, v1
	v_or_b32_e32 v13, 0x1000, v3
	v_lshrrev_b32_e32 v16, v7, v11
	v_add_u32_e32 v10, 0xfffffc10, v10
	v_lshl_or_b32 v12, v8, 12, v1
	v_cndmask_b32_e64 v1, 0, 1, vcc
	v_cmp_ne_u32_e32 vcc, 0, v3
	v_lshrrev_b32_e32 v17, v9, v13
	v_lshlrev_b32_e32 v7, v7, v16
	v_lshl_or_b32 v14, v10, 12, v3
	v_cndmask_b32_e64 v3, 0, 1, vcc
	v_lshlrev_b32_e32 v9, v9, v17
	v_cmp_ne_u32_e32 vcc, v7, v11
	v_cndmask_b32_e64 v7, 0, 1, vcc
	v_cmp_ne_u32_e32 vcc, v9, v13
	v_cndmask_b32_e64 v9, 0, 1, vcc
	v_or_b32_e32 v7, v16, v7
	v_cmp_gt_i32_e32 vcc, 1, v8
	v_cndmask_b32_e32 v7, v12, v7, vcc
	v_or_b32_e32 v9, v17, v9
	v_cmp_gt_i32_e32 vcc, 1, v10
	v_and_b32_e32 v11, 7, v7
	v_cndmask_b32_e32 v9, v14, v9, vcc
	v_cmp_lt_i32_e32 vcc, 5, v11
	v_cmp_eq_u32_e64 s[0:1], 3, v11
	v_lshrrev_b32_e32 v7, 2, v7
	v_and_b32_e32 v12, 7, v9
	s_or_b64 vcc, s[0:1], vcc
	v_cmp_lt_i32_e64 s[2:3], 5, v12
	v_cmp_eq_u32_e64 s[4:5], 3, v12
	v_addc_co_u32_e32 v7, vcc, 0, v7, vcc
	v_lshrrev_b32_e32 v9, 2, v9
	s_or_b64 vcc, s[4:5], s[2:3]
	v_addc_co_u32_e32 v9, vcc, 0, v9, vcc
	v_cmp_gt_i32_e32 vcc, 31, v8
	v_cndmask_b32_e32 v7, v15, v7, vcc
	v_cmp_gt_i32_e32 vcc, 31, v10
	v_lshl_or_b32 v1, v1, 9, v15
	v_cndmask_b32_e32 v9, v15, v9, vcc
	v_cmp_eq_u32_e32 vcc, s17, v8
	v_lshrrev_b32_e32 v2, 16, v2
	v_lshl_or_b32 v3, v3, 9, v15
	v_cndmask_b32_e32 v1, v7, v1, vcc
	v_cmp_eq_u32_e32 vcc, s17, v10
	v_lshrrev_b32_e32 v4, 16, v4
	v_cndmask_b32_e32 v3, v9, v3, vcc
	v_and_or_b32 v1, v2, s18, v1
	v_and_or_b32 v2, v4, s18, v3
	v_and_b32_e32 v1, 0xffff, v1
	v_lshl_or_b32 v1, v2, 16, v1
	global_store_dword v[5:6], v1, off
	global_load_dword v3, v74, s[6:7]
	ds_read2st64_b32 v[1:2], v57 offset0:136 offset1:156
	s_mov_b32 s0, 0x9000
	v_add_co_u32_e32 v9, vcc, s0, v55
	v_addc_co_u32_e32 v10, vcc, 0, v56, vcc
	s_waitcnt lgkmcnt(0)
	v_lshrrev_b32_e32 v4, 16, v1
	v_add_co_u32_e32 v5, vcc, s10, v5
	v_addc_co_u32_e32 v6, vcc, v6, v0, vcc
	s_waitcnt vmcnt(0)
	v_mul_f16_sdwa v7, v4, v3 dst_sel:DWORD dst_unused:UNUSED_PAD src0_sel:DWORD src1_sel:WORD_1
	v_fma_f16 v7, v1, v3, v7
	v_mul_f16_sdwa v1, v1, v3 dst_sel:DWORD dst_unused:UNUSED_PAD src0_sel:DWORD src1_sel:WORD_1
	v_cvt_f32_f16_e32 v7, v7
	v_fma_f16 v1, v3, v4, -v1
	v_cvt_f32_f16_e32 v1, v1
	v_cvt_f64_f32_e32 v[3:4], v7
	v_cvt_f64_f32_e32 v[7:8], v1
	v_mul_f64 v[3:4], v[3:4], s[14:15]
	v_mul_f64 v[7:8], v[7:8], s[14:15]
	v_and_or_b32 v1, v4, s19, v3
	v_cmp_ne_u32_e32 vcc, 0, v1
	v_and_or_b32 v7, v8, s19, v7
	v_lshrrev_b32_e32 v3, 8, v4
	v_bfe_u32 v11, v4, 20, 11
	v_cndmask_b32_e64 v1, 0, 1, vcc
	v_cmp_ne_u32_e32 vcc, 0, v7
	v_lshrrev_b32_e32 v12, 8, v8
	v_bfe_u32 v13, v8, 20, 11
	v_sub_u32_e32 v14, 0x3f1, v11
	v_cndmask_b32_e64 v7, 0, 1, vcc
	v_and_or_b32 v1, v3, s16, v1
	v_sub_u32_e32 v16, 0x3f1, v13
	v_med3_i32 v3, v14, 0, 13
	v_and_or_b32 v7, v12, s16, v7
	v_or_b32_e32 v14, 0x1000, v1
	v_add_u32_e32 v11, 0xfffffc10, v11
	v_med3_i32 v12, v16, 0, 13
	v_cmp_ne_u32_e32 vcc, 0, v1
	v_or_b32_e32 v17, 0x1000, v7
	v_lshrrev_b32_e32 v19, v3, v14
	v_add_u32_e32 v13, 0xfffffc10, v13
	v_lshl_or_b32 v16, v11, 12, v1
	v_cndmask_b32_e64 v1, 0, 1, vcc
	v_cmp_ne_u32_e32 vcc, 0, v7
	v_lshrrev_b32_e32 v20, v12, v17
	v_lshlrev_b32_e32 v3, v3, v19
	v_lshl_or_b32 v18, v13, 12, v7
	v_cndmask_b32_e64 v7, 0, 1, vcc
	v_lshlrev_b32_e32 v12, v12, v20
	v_cmp_ne_u32_e32 vcc, v3, v14
	v_cndmask_b32_e64 v3, 0, 1, vcc
	v_cmp_ne_u32_e32 vcc, v12, v17
	v_cndmask_b32_e64 v12, 0, 1, vcc
	v_or_b32_e32 v3, v19, v3
	v_cmp_gt_i32_e32 vcc, 1, v11
	v_cndmask_b32_e32 v3, v16, v3, vcc
	v_or_b32_e32 v12, v20, v12
	v_cmp_gt_i32_e32 vcc, 1, v13
	v_and_b32_e32 v14, 7, v3
	v_cndmask_b32_e32 v12, v18, v12, vcc
	v_cmp_lt_i32_e32 vcc, 5, v14
	v_cmp_eq_u32_e64 s[0:1], 3, v14
	v_lshrrev_b32_e32 v3, 2, v3
	v_and_b32_e32 v16, 7, v12
	s_or_b64 vcc, s[0:1], vcc
	v_cmp_lt_i32_e64 s[2:3], 5, v16
	v_cmp_eq_u32_e64 s[4:5], 3, v16
	v_addc_co_u32_e32 v3, vcc, 0, v3, vcc
	v_lshrrev_b32_e32 v12, 2, v12
	s_or_b64 vcc, s[4:5], s[2:3]
	v_addc_co_u32_e32 v12, vcc, 0, v12, vcc
	v_cmp_gt_i32_e32 vcc, 31, v11
	v_cndmask_b32_e32 v3, v15, v3, vcc
	v_cmp_gt_i32_e32 vcc, 31, v13
	v_lshl_or_b32 v1, v1, 9, v15
	v_cndmask_b32_e32 v12, v15, v12, vcc
	v_cmp_eq_u32_e32 vcc, s17, v11
	v_lshrrev_b32_e32 v4, 16, v4
	v_lshl_or_b32 v7, v7, 9, v15
	v_cndmask_b32_e32 v1, v3, v1, vcc
	v_cmp_eq_u32_e32 vcc, s17, v13
	v_lshrrev_b32_e32 v8, 16, v8
	v_cndmask_b32_e32 v3, v12, v7, vcc
	v_and_or_b32 v1, v4, s18, v1
	v_and_or_b32 v3, v8, s18, v3
	v_and_b32_e32 v1, 0xffff, v1
	v_lshl_or_b32 v1, v3, 16, v1
	global_store_dword v[5:6], v1, off
	global_load_dword v1, v[9:10], off offset:3072
	v_lshrrev_b32_e32 v3, 16, v2
	s_waitcnt vmcnt(0)
	v_mul_f16_sdwa v4, v3, v1 dst_sel:DWORD dst_unused:UNUSED_PAD src0_sel:DWORD src1_sel:WORD_1
	v_fma_f16 v4, v2, v1, v4
	v_mul_f16_sdwa v2, v2, v1 dst_sel:DWORD dst_unused:UNUSED_PAD src0_sel:DWORD src1_sel:WORD_1
	v_cvt_f32_f16_e32 v4, v4
	v_fma_f16 v1, v1, v3, -v2
	v_cvt_f32_f16_e32 v3, v1
	v_cvt_f64_f32_e32 v[1:2], v4
	v_cvt_f64_f32_e32 v[3:4], v3
	v_mul_f64 v[1:2], v[1:2], s[14:15]
	v_mul_f64 v[3:4], v[3:4], s[14:15]
	v_and_or_b32 v1, v2, s19, v1
	v_cmp_ne_u32_e32 vcc, 0, v1
	v_and_or_b32 v3, v4, s19, v3
	v_lshrrev_b32_e32 v7, 8, v2
	v_bfe_u32 v8, v2, 20, 11
	v_cndmask_b32_e64 v1, 0, 1, vcc
	v_cmp_ne_u32_e32 vcc, 0, v3
	v_lshrrev_b32_e32 v9, 8, v4
	v_bfe_u32 v10, v4, 20, 11
	v_sub_u32_e32 v11, 0x3f1, v8
	v_cndmask_b32_e64 v3, 0, 1, vcc
	v_and_or_b32 v1, v7, s16, v1
	v_sub_u32_e32 v12, 0x3f1, v10
	v_med3_i32 v7, v11, 0, 13
	v_and_or_b32 v3, v9, s16, v3
	v_or_b32_e32 v11, 0x1000, v1
	v_add_u32_e32 v8, 0xfffffc10, v8
	v_med3_i32 v9, v12, 0, 13
	v_cmp_ne_u32_e32 vcc, 0, v1
	v_or_b32_e32 v13, 0x1000, v3
	v_lshrrev_b32_e32 v16, v7, v11
	v_add_u32_e32 v10, 0xfffffc10, v10
	v_lshl_or_b32 v12, v8, 12, v1
	v_cndmask_b32_e64 v1, 0, 1, vcc
	v_cmp_ne_u32_e32 vcc, 0, v3
	v_lshrrev_b32_e32 v17, v9, v13
	v_lshlrev_b32_e32 v7, v7, v16
	v_lshl_or_b32 v14, v10, 12, v3
	v_cndmask_b32_e64 v3, 0, 1, vcc
	v_lshlrev_b32_e32 v9, v9, v17
	v_cmp_ne_u32_e32 vcc, v7, v11
	v_cndmask_b32_e64 v7, 0, 1, vcc
	v_cmp_ne_u32_e32 vcc, v9, v13
	v_cndmask_b32_e64 v9, 0, 1, vcc
	v_or_b32_e32 v7, v16, v7
	v_cmp_gt_i32_e32 vcc, 1, v8
	v_cndmask_b32_e32 v7, v12, v7, vcc
	v_or_b32_e32 v9, v17, v9
	v_cmp_gt_i32_e32 vcc, 1, v10
	v_and_b32_e32 v11, 7, v7
	v_cndmask_b32_e32 v9, v14, v9, vcc
	v_cmp_lt_i32_e32 vcc, 5, v11
	v_cmp_eq_u32_e64 s[0:1], 3, v11
	v_lshrrev_b32_e32 v7, 2, v7
	v_and_b32_e32 v12, 7, v9
	s_or_b64 vcc, s[0:1], vcc
	v_cmp_lt_i32_e64 s[2:3], 5, v12
	v_cmp_eq_u32_e64 s[4:5], 3, v12
	v_addc_co_u32_e32 v7, vcc, 0, v7, vcc
	v_lshrrev_b32_e32 v9, 2, v9
	s_or_b64 vcc, s[4:5], s[2:3]
	v_addc_co_u32_e32 v9, vcc, 0, v9, vcc
	v_cmp_gt_i32_e32 vcc, 31, v8
	v_cndmask_b32_e32 v7, v15, v7, vcc
	v_cmp_gt_i32_e32 vcc, 31, v10
	v_lshl_or_b32 v1, v1, 9, v15
	v_cndmask_b32_e32 v9, v15, v9, vcc
	v_cmp_eq_u32_e32 vcc, s17, v8
	v_lshrrev_b32_e32 v2, 16, v2
	v_lshl_or_b32 v3, v3, 9, v15
	v_cndmask_b32_e32 v1, v7, v1, vcc
	v_cmp_eq_u32_e32 vcc, s17, v10
	v_lshrrev_b32_e32 v4, 16, v4
	v_cndmask_b32_e32 v3, v9, v3, vcc
	v_and_or_b32 v1, v2, s18, v1
	v_and_or_b32 v2, v4, s18, v3
	v_and_b32_e32 v1, 0xffff, v1
	v_lshl_or_b32 v3, v2, 16, v1
	v_add_co_u32_e32 v1, vcc, s10, v5
	v_addc_co_u32_e32 v2, vcc, v6, v0, vcc
	global_store_dword v[1:2], v3, off
.LBB0_15:
	s_endpgm
	.section	.rodata,"a",@progbits
	.p2align	6, 0x0
	.amdhsa_kernel bluestein_single_fwd_len10240_dim1_half_op_CI_CI
		.amdhsa_group_segment_fixed_size 40960
		.amdhsa_private_segment_fixed_size 0
		.amdhsa_kernarg_size 104
		.amdhsa_user_sgpr_count 6
		.amdhsa_user_sgpr_private_segment_buffer 1
		.amdhsa_user_sgpr_dispatch_ptr 0
		.amdhsa_user_sgpr_queue_ptr 0
		.amdhsa_user_sgpr_kernarg_segment_ptr 1
		.amdhsa_user_sgpr_dispatch_id 0
		.amdhsa_user_sgpr_flat_scratch_init 0
		.amdhsa_user_sgpr_private_segment_size 0
		.amdhsa_uses_dynamic_stack 0
		.amdhsa_system_sgpr_private_segment_wavefront_offset 0
		.amdhsa_system_sgpr_workgroup_id_x 1
		.amdhsa_system_sgpr_workgroup_id_y 0
		.amdhsa_system_sgpr_workgroup_id_z 0
		.amdhsa_system_sgpr_workgroup_info 0
		.amdhsa_system_vgpr_workitem_id 0
		.amdhsa_next_free_vgpr 128
		.amdhsa_next_free_sgpr 20
		.amdhsa_reserve_vcc 1
		.amdhsa_reserve_flat_scratch 0
		.amdhsa_float_round_mode_32 0
		.amdhsa_float_round_mode_16_64 0
		.amdhsa_float_denorm_mode_32 3
		.amdhsa_float_denorm_mode_16_64 3
		.amdhsa_dx10_clamp 1
		.amdhsa_ieee_mode 1
		.amdhsa_fp16_overflow 0
		.amdhsa_exception_fp_ieee_invalid_op 0
		.amdhsa_exception_fp_denorm_src 0
		.amdhsa_exception_fp_ieee_div_zero 0
		.amdhsa_exception_fp_ieee_overflow 0
		.amdhsa_exception_fp_ieee_underflow 0
		.amdhsa_exception_fp_ieee_inexact 0
		.amdhsa_exception_int_div_zero 0
	.end_amdhsa_kernel
	.text
.Lfunc_end0:
	.size	bluestein_single_fwd_len10240_dim1_half_op_CI_CI, .Lfunc_end0-bluestein_single_fwd_len10240_dim1_half_op_CI_CI
                                        ; -- End function
	.section	.AMDGPU.csdata,"",@progbits
; Kernel info:
; codeLenInByte = 35336
; NumSgprs: 24
; NumVgprs: 128
; ScratchSize: 0
; MemoryBound: 0
; FloatMode: 240
; IeeeMode: 1
; LDSByteSize: 40960 bytes/workgroup (compile time only)
; SGPRBlocks: 2
; VGPRBlocks: 31
; NumSGPRsForWavesPerEU: 24
; NumVGPRsForWavesPerEU: 128
; Occupancy: 2
; WaveLimiterHint : 1
; COMPUTE_PGM_RSRC2:SCRATCH_EN: 0
; COMPUTE_PGM_RSRC2:USER_SGPR: 6
; COMPUTE_PGM_RSRC2:TRAP_HANDLER: 0
; COMPUTE_PGM_RSRC2:TGID_X_EN: 1
; COMPUTE_PGM_RSRC2:TGID_Y_EN: 0
; COMPUTE_PGM_RSRC2:TGID_Z_EN: 0
; COMPUTE_PGM_RSRC2:TIDIG_COMP_CNT: 0
	.type	__hip_cuid_33e7b8844926cf5c,@object ; @__hip_cuid_33e7b8844926cf5c
	.section	.bss,"aw",@nobits
	.globl	__hip_cuid_33e7b8844926cf5c
__hip_cuid_33e7b8844926cf5c:
	.byte	0                               ; 0x0
	.size	__hip_cuid_33e7b8844926cf5c, 1

	.ident	"AMD clang version 19.0.0git (https://github.com/RadeonOpenCompute/llvm-project roc-6.4.0 25133 c7fe45cf4b819c5991fe208aaa96edf142730f1d)"
	.section	".note.GNU-stack","",@progbits
	.addrsig
	.addrsig_sym __hip_cuid_33e7b8844926cf5c
	.amdgpu_metadata
---
amdhsa.kernels:
  - .args:
      - .actual_access:  read_only
        .address_space:  global
        .offset:         0
        .size:           8
        .value_kind:     global_buffer
      - .actual_access:  read_only
        .address_space:  global
        .offset:         8
        .size:           8
        .value_kind:     global_buffer
      - .actual_access:  read_only
        .address_space:  global
        .offset:         16
        .size:           8
        .value_kind:     global_buffer
      - .actual_access:  read_only
        .address_space:  global
        .offset:         24
        .size:           8
        .value_kind:     global_buffer
      - .actual_access:  read_only
        .address_space:  global
        .offset:         32
        .size:           8
        .value_kind:     global_buffer
      - .offset:         40
        .size:           8
        .value_kind:     by_value
      - .address_space:  global
        .offset:         48
        .size:           8
        .value_kind:     global_buffer
      - .address_space:  global
        .offset:         56
        .size:           8
        .value_kind:     global_buffer
      - .address_space:  global
        .offset:         64
        .size:           8
        .value_kind:     global_buffer
      - .address_space:  global
        .offset:         72
        .size:           8
        .value_kind:     global_buffer
      - .offset:         80
        .size:           4
        .value_kind:     by_value
      - .address_space:  global
        .offset:         88
        .size:           8
        .value_kind:     global_buffer
      - .address_space:  global
        .offset:         96
        .size:           8
        .value_kind:     global_buffer
    .group_segment_fixed_size: 40960
    .kernarg_segment_align: 8
    .kernarg_segment_size: 104
    .language:       OpenCL C
    .language_version:
      - 2
      - 0
    .max_flat_workgroup_size: 512
    .name:           bluestein_single_fwd_len10240_dim1_half_op_CI_CI
    .private_segment_fixed_size: 0
    .sgpr_count:     24
    .sgpr_spill_count: 0
    .symbol:         bluestein_single_fwd_len10240_dim1_half_op_CI_CI.kd
    .uniform_work_group_size: 1
    .uses_dynamic_stack: false
    .vgpr_count:     128
    .vgpr_spill_count: 0
    .wavefront_size: 64
amdhsa.target:   amdgcn-amd-amdhsa--gfx906
amdhsa.version:
  - 1
  - 2
...

	.end_amdgpu_metadata
